;; amdgpu-corpus repo=ROCm/rocFFT kind=compiled arch=gfx1030 opt=O3
	.text
	.amdgcn_target "amdgcn-amd-amdhsa--gfx1030"
	.amdhsa_code_object_version 6
	.protected	bluestein_single_fwd_len680_dim1_sp_op_CI_CI ; -- Begin function bluestein_single_fwd_len680_dim1_sp_op_CI_CI
	.globl	bluestein_single_fwd_len680_dim1_sp_op_CI_CI
	.p2align	8
	.type	bluestein_single_fwd_len680_dim1_sp_op_CI_CI,@function
bluestein_single_fwd_len680_dim1_sp_op_CI_CI: ; @bluestein_single_fwd_len680_dim1_sp_op_CI_CI
; %bb.0:
	s_load_dwordx4 s[0:3], s[4:5], 0x28
	v_mul_u32_u24_e32 v1, 0x3c4, v0
	v_lshrrev_b32_e32 v1, 16, v1
	v_mad_u64_u32 v[56:57], null, s6, 3, v[1:2]
	v_mov_b32_e32 v57, 0
                                        ; kill: def $vgpr2 killed $sgpr0 killed $exec
	s_waitcnt lgkmcnt(0)
	v_cmp_gt_u64_e32 vcc_lo, s[0:1], v[56:57]
	s_and_saveexec_b32 s0, vcc_lo
	s_cbranch_execz .LBB0_23
; %bb.1:
	v_mul_hi_u32 v2, 0xaaaaaaab, v56
	v_mul_lo_u16 v1, 0x44, v1
	s_clause 0x1
	s_load_dwordx2 s[12:13], s[4:5], 0x0
	s_load_dwordx2 s[14:15], s[4:5], 0x38
	v_sub_nc_u16 v0, v0, v1
	v_lshrrev_b32_e32 v2, 1, v2
	v_and_b32_e32 v92, 0xffff, v0
	v_cmp_gt_u16_e32 vcc_lo, 40, v0
	v_lshl_add_u32 v2, v2, 1, v2
	v_lshlrev_b32_e32 v91, 3, v92
	v_or_b32_e32 v90, 0x140, v92
	v_sub_nc_u32_e32 v1, v56, v2
	v_or_b32_e32 v89, 0x280, v92
	v_mul_u32_u24_e32 v46, 0x2a8, v1
	v_lshlrev_b32_e32 v93, 3, v46
	s_and_saveexec_b32 s1, vcc_lo
	s_cbranch_execz .LBB0_3
; %bb.2:
	s_load_dwordx2 s[6:7], s[4:5], 0x18
	v_lshlrev_b32_e32 v12, 3, v90
	v_lshlrev_b32_e32 v16, 3, v89
	s_waitcnt lgkmcnt(0)
	v_add_co_u32 v44, s0, s12, v91
	v_add_co_ci_u32_e64 v45, null, s13, 0, s0
	s_load_dwordx4 s[8:11], s[6:7], 0x0
	s_clause 0x4
	global_load_dwordx2 v[2:3], v91, s[12:13]
	global_load_dwordx2 v[4:5], v91, s[12:13] offset:320
	global_load_dwordx2 v[6:7], v91, s[12:13] offset:640
	global_load_dwordx2 v[8:9], v91, s[12:13] offset:960
	global_load_dwordx2 v[12:13], v12, s[12:13]
	s_waitcnt lgkmcnt(0)
	v_mad_u64_u32 v[0:1], null, s10, v56, 0
	v_mad_u64_u32 v[10:11], null, s8, v92, 0
	;; [unrolled: 1-line block ×3, first 2 shown]
	s_mul_i32 s0, s9, 0x140
	s_mul_hi_u32 s6, s8, 0x140
	s_mul_i32 s7, s8, 0x140
	s_add_i32 s6, s6, s0
	s_waitcnt vmcnt(4)
	v_mad_u64_u32 v[14:15], null, s11, v56, v[1:2]
	global_load_dwordx2 v[15:16], v16, s[12:13]
	s_waitcnt vmcnt(1)
	v_mad_u64_u32 v[17:18], null, s9, v92, v[11:12]
	v_mad_u64_u32 v[18:19], null, s8, v90, 0
	v_mov_b32_e32 v1, v14
	v_mov_b32_e32 v11, v17
	v_lshlrev_b64 v[0:1], 3, v[0:1]
	v_mov_b32_e32 v14, v19
	v_mov_b32_e32 v17, v21
	v_lshlrev_b64 v[10:11], 3, v[10:11]
	v_add_co_u32 v32, s0, s2, v0
	v_add_co_ci_u32_e64 v33, s0, s3, v1, s0
	v_mad_u64_u32 v[21:22], null, s9, v89, v[17:18]
	v_add_co_u32 v10, s0, v32, v10
	v_add_co_ci_u32_e64 v11, s0, v33, v11, s0
	v_add_co_u32 v22, s0, v10, s7
	v_add_co_ci_u32_e64 v23, s0, s6, v11, s0
	s_waitcnt vmcnt(0)
	v_mad_u64_u32 v[0:1], null, s9, v90, v[14:15]
	v_mov_b32_e32 v19, v0
	v_add_co_u32 v0, s0, v22, s7
	v_add_co_ci_u32_e64 v1, s0, s6, v23, s0
	v_lshlrev_b64 v[17:18], 3, v[18:19]
	v_add_co_u32 v24, s0, v0, s7
	v_add_co_ci_u32_e64 v25, s0, s6, v1, s0
	v_lshlrev_b64 v[19:20], 3, v[20:21]
	v_add_co_u32 v26, s0, v24, s7
	v_add_co_ci_u32_e64 v27, s0, s6, v25, s0
	v_add_co_u32 v28, s0, v26, s7
	v_add_co_ci_u32_e64 v29, s0, s6, v27, s0
	;; [unrolled: 2-line block ×6, first 2 shown]
	v_add_co_u32 v42, s0, 0x800, v44
	s_clause 0x2
	global_load_dwordx2 v[10:11], v[10:11], off
	global_load_dwordx2 v[17:18], v[17:18], off
	;; [unrolled: 1-line block ×3, first 2 shown]
	v_mad_u64_u32 v[34:35], null, 0x280, s8, v[32:33]
	v_add_co_ci_u32_e64 v43, s0, 0, v45, s0
	v_add_co_u32 v44, s0, 0x1000, v44
	s_clause 0x2
	global_load_dwordx2 v[36:37], v91, s[12:13] offset:1280
	global_load_dwordx2 v[38:39], v91, s[12:13] offset:1600
	;; [unrolled: 1-line block ×3, first 2 shown]
	global_load_dwordx2 v[21:22], v[22:23], off
	v_add_co_ci_u32_e64 v45, s0, 0, v45, s0
	v_mov_b32_e32 v14, v35
	v_add_co_u32 v59, s0, v34, s7
	s_clause 0x2
	global_load_dwordx2 v[0:1], v[0:1], off
	global_load_dwordx2 v[23:24], v[24:25], off
	;; [unrolled: 1-line block ×3, first 2 shown]
	v_mad_u64_u32 v[47:48], null, 0x280, s9, v[14:15]
	s_clause 0x3
	global_load_dwordx2 v[48:49], v[42:43], off offset:192
	global_load_dwordx2 v[50:51], v[42:43], off offset:832
	;; [unrolled: 1-line block ×4, first 2 shown]
	global_load_dwordx2 v[27:28], v[28:29], off
	s_clause 0x1
	global_load_dwordx2 v[42:43], v[42:43], off offset:1792
	global_load_dwordx2 v[57:58], v[44:45], off offset:64
	global_load_dwordx2 v[29:30], v[30:31], off
	global_load_dwordx2 v[31:32], v[32:33], off
	v_lshl_add_u32 v14, v92, 3, v93
	v_mov_b32_e32 v35, v47
	v_add_co_ci_u32_e64 v60, s0, s6, v35, s0
	v_add_co_u32 v61, s0, v59, s7
	global_load_dwordx2 v[33:34], v[34:35], off
	v_add_co_ci_u32_e64 v62, s0, s6, v60, s0
	v_add_co_u32 v63, s0, v61, s7
	global_load_dwordx2 v[59:60], v[59:60], off
	;; [unrolled: 3-line block ×5, first 2 shown]
	v_add_co_ci_u32_e64 v70, s0, s6, v68, s0
	global_load_dwordx2 v[67:68], v[67:68], off
	s_clause 0x1
	global_load_dwordx2 v[71:72], v[44:45], off offset:384
	global_load_dwordx2 v[44:45], v[44:45], off offset:704
	global_load_dwordx2 v[69:70], v[69:70], off
	v_add_nc_u32_e32 v35, v93, v91
	v_add_nc_u32_e32 v47, 0x800, v35
	;; [unrolled: 1-line block ×3, first 2 shown]
	s_waitcnt vmcnt(27)
	v_mul_f32_e32 v74, v10, v3
	v_mul_f32_e32 v73, v11, v3
	s_waitcnt vmcnt(26)
	v_mul_f32_e32 v75, v18, v13
	v_mul_f32_e32 v13, v17, v13
	s_waitcnt vmcnt(25)
	v_mul_f32_e32 v3, v20, v16
	v_fma_f32 v74, v11, v2, -v74
	v_fmac_f32_e32 v73, v10, v2
	v_fmac_f32_e32 v75, v17, v12
	v_fma_f32 v76, v18, v12, -v13
	s_waitcnt vmcnt(21)
	v_mul_f32_e32 v2, v21, v5
	v_mul_f32_e32 v10, v22, v5
	;; [unrolled: 1-line block ×3, first 2 shown]
	ds_write_b64 v14, v[73:74]
	v_fmac_f32_e32 v3, v19, v15
	v_fma_f32 v11, v22, v4, -v2
	s_waitcnt vmcnt(20)
	v_mul_f32_e32 v2, v0, v7
	v_fmac_f32_e32 v10, v21, v4
	v_mul_f32_e32 v4, v1, v7
	s_waitcnt vmcnt(19)
	v_mul_f32_e32 v7, v23, v9
	v_mul_f32_e32 v12, v24, v9
	v_fma_f32 v5, v1, v6, -v2
	s_waitcnt vmcnt(13)
	v_mul_f32_e32 v2, v27, v39
	v_fmac_f32_e32 v4, v0, v6
	v_fma_f32 v13, v24, v8, -v7
	v_fmac_f32_e32 v12, v23, v8
	v_mul_f32_e32 v6, v28, v39
	s_waitcnt vmcnt(10)
	v_mul_f32_e32 v8, v30, v41
	v_fma_f32 v7, v28, v38, -v2
	v_mul_f32_e32 v2, v29, v41
	v_mul_f32_e32 v1, v25, v37
	;; [unrolled: 1-line block ×3, first 2 shown]
	v_fmac_f32_e32 v6, v27, v38
	v_fmac_f32_e32 v8, v29, v40
	v_fma_f32 v9, v30, v40, -v2
	v_fma_f32 v1, v26, v36, -v1
	v_fmac_f32_e32 v0, v25, v36
	s_waitcnt vmcnt(9)
	v_mul_f32_e32 v16, v32, v49
	v_mul_f32_e32 v14, v31, v49
	ds_write2_b64 v35, v[10:11], v[4:5] offset0:40 offset1:80
	ds_write2_b64 v35, v[12:13], v[0:1] offset0:120 offset1:160
	s_waitcnt vmcnt(7)
	v_mul_f32_e32 v2, v59, v53
	ds_write2_b64 v35, v[6:7], v[8:9] offset0:200 offset1:240
	v_fmac_f32_e32 v16, v31, v48
	v_fma_f32 v17, v32, v48, -v14
	v_mul_f32_e32 v0, v34, v51
	v_fma_f32 v6, v60, v52, -v2
	s_waitcnt vmcnt(6)
	v_mul_f32_e32 v2, v61, v55
	v_mul_f32_e32 v1, v33, v51
	;; [unrolled: 1-line block ×3, first 2 shown]
	s_waitcnt vmcnt(5)
	v_mul_f32_e32 v4, v63, v43
	v_mul_f32_e32 v7, v62, v55
	;; [unrolled: 1-line block ×3, first 2 shown]
	v_fma_f32 v8, v62, v54, -v2
	ds_write2_b64 v47, v[16:17], v[75:76] offset0:24 offset1:64
	s_waitcnt vmcnt(4)
	v_mul_f32_e32 v11, v66, v58
	v_fma_f32 v10, v64, v42, -v4
	v_mul_f32_e32 v2, v65, v58
	s_waitcnt vmcnt(2)
	v_mul_f32_e32 v13, v68, v72
	v_mul_f32_e32 v4, v67, v72
	s_waitcnt vmcnt(0)
	v_mul_f32_e32 v16, v70, v45
	v_mul_f32_e32 v17, v69, v45
	v_fmac_f32_e32 v0, v33, v50
	v_fma_f32 v1, v34, v50, -v1
	v_fmac_f32_e32 v5, v59, v52
	v_fmac_f32_e32 v7, v61, v54
	;; [unrolled: 1-line block ×4, first 2 shown]
	v_fma_f32 v12, v66, v57, -v2
	v_fmac_f32_e32 v13, v67, v71
	v_fma_f32 v14, v68, v71, -v4
	v_fmac_f32_e32 v16, v69, v44
	v_fma_f32 v17, v70, v44, -v17
	v_fma_f32 v4, v20, v15, -v78
	ds_write2_b64 v47, v[0:1], v[5:6] offset0:104 offset1:144
	ds_write2_b64 v47, v[7:8], v[9:10] offset0:184 offset1:224
	;; [unrolled: 1-line block ×4, first 2 shown]
.LBB0_3:
	s_or_b32 exec_lo, exec_lo, s1
	v_mov_b32_e32 v8, 0
	v_mov_b32_e32 v9, 0
	s_waitcnt lgkmcnt(0)
	s_barrier
	buffer_gl0_inv
                                        ; implicit-def: $vgpr18
                                        ; implicit-def: $vgpr12
                                        ; implicit-def: $vgpr4
                                        ; implicit-def: $vgpr44
                                        ; implicit-def: $vgpr26
                                        ; implicit-def: $vgpr34
                                        ; implicit-def: $vgpr30
                                        ; implicit-def: $vgpr22
	s_and_saveexec_b32 s0, vcc_lo
	s_cbranch_execz .LBB0_5
; %bb.4:
	v_lshl_add_u32 v0, v46, 3, v91
	ds_read2_b64 v[8:11], v0 offset1:40
	ds_read2_b64 v[20:23], v0 offset0:80 offset1:120
	v_add_nc_u32_e32 v1, 0x400, v0
	v_add_nc_u32_e32 v2, 0x800, v0
	;; [unrolled: 1-line block ×4, first 2 shown]
	ds_read2_b64 v[28:31], v0 offset0:160 offset1:200
	ds_read2_b64 v[32:35], v1 offset0:112 offset1:152
	;; [unrolled: 1-line block ×6, first 2 shown]
	ds_read_b64 v[44:45], v0 offset:5120
.LBB0_5:
	s_or_b32 exec_lo, exec_lo, s0
	s_waitcnt lgkmcnt(0)
	v_sub_f32_e32 v36, v11, v45
	v_add_f32_e32 v70, v44, v10
	v_sub_f32_e32 v37, v10, v44
	v_sub_f32_e32 v41, v21, v7
	v_add_f32_e32 v71, v45, v11
	v_mul_f32_e32 v76, 0xbeb8f4ab, v36
	v_add_f32_e32 v47, v6, v20
	v_sub_f32_e32 v40, v20, v6
	v_mul_f32_e32 v77, 0xbeb8f4ab, v37
	v_mul_f32_e32 v48, 0xbf2c7751, v41
	v_fmamk_f32 v0, v70, 0x3f6eb680, v76
	v_sub_f32_e32 v43, v23, v5
	v_add_f32_e32 v50, v7, v21
	v_mul_f32_e32 v49, 0xbf2c7751, v40
	v_fma_f32 v1, 0x3f6eb680, v71, -v77
	v_fmamk_f32 v2, v47, 0x3f3d2fb0, v48
	v_add_f32_e32 v0, v0, v8
	v_sub_f32_e32 v42, v22, v4
	v_add_f32_e32 v52, v4, v22
	v_mul_f32_e32 v51, 0xbf65296c, v43
	v_sub_f32_e32 v94, v29, v15
	v_fma_f32 v3, 0x3f3d2fb0, v50, -v49
	v_add_f32_e32 v1, v1, v9
	v_add_f32_e32 v0, v2, v0
	;; [unrolled: 1-line block ×3, first 2 shown]
	v_mul_f32_e32 v63, 0xbf65296c, v42
	v_fmamk_f32 v2, v52, 0x3ee437d1, v51
	v_add_f32_e32 v55, v14, v28
	v_mul_f32_e32 v54, 0xbf7ee86f, v94
	v_sub_f32_e32 v187, v28, v14
	v_sub_f32_e32 v189, v31, v13
	v_add_f32_e32 v1, v3, v1
	v_fma_f32 v3, 0x3ee437d1, v53, -v63
	v_add_f32_e32 v0, v2, v0
	v_fmamk_f32 v2, v55, 0x3dbcf732, v54
	v_add_f32_e32 v67, v15, v29
	v_mul_f32_e32 v66, 0xbf7ee86f, v187
	v_add_f32_e32 v65, v12, v30
	v_mul_f32_e32 v64, 0xbf763a35, v189
	v_sub_f32_e32 v190, v30, v12
	v_add_f32_e32 v1, v3, v1
	v_fma_f32 v3, 0x3dbcf732, v67, -v66
	v_add_f32_e32 v0, v2, v0
	v_fmamk_f32 v2, v65, 0xbe8c1d8e, v64
	v_add_f32_e32 v69, v13, v31
	v_mul_f32_e32 v68, 0xbf763a35, v190
	v_sub_f32_e32 v191, v33, v19
	v_sub_f32_e32 v192, v32, v18
	v_add_f32_e32 v1, v3, v1
	v_add_f32_e32 v0, v2, v0
	v_fma_f32 v2, 0xbe8c1d8e, v69, -v68
	v_add_f32_e32 v73, v18, v32
	v_mul_f32_e32 v72, 0xbf4c4adb, v191
	v_add_f32_e32 v75, v19, v33
	v_mul_f32_e32 v74, 0xbf4c4adb, v192
	v_sub_f32_e32 v193, v35, v17
	v_sub_f32_e32 v194, v34, v16
	v_add_f32_e32 v1, v2, v1
	v_fmamk_f32 v2, v73, 0xbf1a4643, v72
	v_fma_f32 v3, 0xbf1a4643, v75, -v74
	v_add_f32_e32 v79, v16, v34
	v_mul_f32_e32 v78, 0xbf06c442, v193
	v_add_f32_e32 v81, v17, v35
	v_mul_f32_e32 v80, 0xbf06c442, v194
	v_add_f32_e32 v0, v2, v0
	v_add_f32_e32 v1, v3, v1
	v_fmamk_f32 v2, v79, 0xbf59a7d5, v78
	v_mul_f32_e32 v126, 0xbf2c7751, v36
	v_fma_f32 v3, 0xbf59a7d5, v81, -v80
	v_mul_f32_e32 v132, 0xbf2c7751, v37
	v_mul_f32_e32 v86, 0xbf7ee86f, v41
	v_add_f32_e32 v0, v2, v0
	v_fmamk_f32 v2, v70, 0x3f3d2fb0, v126
	v_add_f32_e32 v1, v3, v1
	v_fma_f32 v3, 0x3f3d2fb0, v71, -v132
	v_mul_f32_e32 v96, 0xbf7ee86f, v40
	v_fmamk_f32 v38, v47, 0x3dbcf732, v86
	v_add_f32_e32 v2, v2, v8
	v_mul_f32_e32 v88, 0xbf4c4adb, v43
	v_add_f32_e32 v3, v3, v9
	v_fma_f32 v39, 0x3dbcf732, v50, -v96
	v_mul_f32_e32 v98, 0xbf4c4adb, v42
	v_add_f32_e32 v2, v38, v2
	v_fmamk_f32 v38, v52, 0xbf1a4643, v88
	v_mul_f32_e32 v95, 0xbe3c28d5, v94
	v_add_f32_e32 v3, v39, v3
	v_fma_f32 v39, 0xbf1a4643, v53, -v98
	v_mul_f32_e32 v100, 0xbe3c28d5, v187
	v_sub_f32_e32 v195, v25, v27
	v_add_f32_e32 v2, v38, v2
	v_fmamk_f32 v38, v55, 0xbf7ba420, v95
	v_add_f32_e32 v3, v39, v3
	v_fma_f32 v39, 0xbf7ba420, v67, -v100
	v_mul_f32_e32 v97, 0x3f06c442, v189
	v_mul_f32_e32 v102, 0x3f06c442, v190
	v_sub_f32_e32 v196, v24, v26
	v_add_f32_e32 v82, v26, v24
	v_mul_f32_e32 v83, 0xbe3c28d5, v195
	v_add_f32_e32 v2, v38, v2
	v_add_f32_e32 v3, v39, v3
	v_fmamk_f32 v38, v65, 0xbf59a7d5, v97
	v_fma_f32 v39, 0xbf59a7d5, v69, -v102
	v_mul_f32_e32 v99, 0x3f763a35, v191
	v_mul_f32_e32 v103, 0x3f763a35, v192
	v_add_f32_e32 v84, v27, v25
	v_mul_f32_e32 v85, 0xbe3c28d5, v196
	v_fmamk_f32 v57, v82, 0xbf7ba420, v83
	v_add_f32_e32 v38, v38, v2
	v_add_f32_e32 v3, v39, v3
	v_fmamk_f32 v39, v73, 0xbe8c1d8e, v99
	v_mul_f32_e32 v101, 0x3f65296c, v193
	v_fma_f32 v59, 0xbe8c1d8e, v75, -v103
	v_mul_f32_e32 v104, 0x3f65296c, v194
	v_fma_f32 v58, 0xbf7ba420, v84, -v85
	v_add_f32_e32 v2, v57, v0
	v_add_f32_e32 v0, v39, v38
	v_fmamk_f32 v38, v79, 0x3ee437d1, v101
	v_add_f32_e32 v39, v59, v3
	v_fma_f32 v57, 0x3ee437d1, v81, -v104
	v_mul_f32_e32 v136, 0xbf65296c, v36
	v_mul_f32_e32 v137, 0xbf65296c, v37
	v_add_f32_e32 v3, v58, v1
	v_add_f32_e32 v0, v38, v0
	;; [unrolled: 1-line block ×3, first 2 shown]
	v_mul_f32_e32 v87, 0x3eb8f4ab, v195
	v_fmamk_f32 v38, v70, 0x3ee437d1, v136
	v_mul_f32_e32 v107, 0xbf4c4adb, v41
	v_fma_f32 v39, 0x3ee437d1, v71, -v137
	v_mul_f32_e32 v114, 0xbf4c4adb, v40
	v_fmamk_f32 v57, v82, 0x3f6eb680, v87
	v_add_f32_e32 v38, v38, v8
	v_fmamk_f32 v58, v47, 0xbf1a4643, v107
	v_add_f32_e32 v39, v39, v9
	v_fma_f32 v59, 0xbf1a4643, v50, -v114
	v_mul_f32_e32 v109, 0x3e3c28d5, v43
	v_mul_f32_e32 v119, 0x3e3c28d5, v42
	v_add_f32_e32 v0, v57, v0
	v_add_f32_e32 v38, v58, v38
	;; [unrolled: 1-line block ×3, first 2 shown]
	v_fmamk_f32 v57, v52, 0xbf7ba420, v109
	v_fma_f32 v58, 0xbf7ba420, v53, -v119
	v_mul_f32_e32 v112, 0x3f763a35, v94
	v_mul_f32_e32 v122, 0x3f763a35, v187
	;; [unrolled: 1-line block ×3, first 2 shown]
	v_add_f32_e32 v38, v57, v38
	v_add_f32_e32 v39, v58, v39
	v_fmamk_f32 v57, v55, 0xbe8c1d8e, v112
	v_fma_f32 v58, 0xbe8c1d8e, v67, -v122
	v_mul_f32_e32 v127, 0x3f2c7751, v190
	v_mul_f32_e32 v105, 0x3eb8f4ab, v196
	;; [unrolled: 1-line block ×3, first 2 shown]
	v_add_f32_e32 v38, v57, v38
	v_add_f32_e32 v39, v58, v39
	v_fmamk_f32 v57, v65, 0x3f3d2fb0, v116
	v_fma_f32 v58, 0x3f3d2fb0, v69, -v127
	v_mul_f32_e32 v129, 0xbeb8f4ab, v192
	v_fma_f32 v59, 0x3f6eb680, v84, -v105
	v_mul_f32_e32 v124, 0xbf7ee86f, v193
	v_add_f32_e32 v38, v57, v38
	v_add_f32_e32 v39, v58, v39
	v_fmamk_f32 v57, v73, 0x3f6eb680, v120
	v_fma_f32 v58, 0x3f6eb680, v75, -v129
	v_mul_f32_e32 v131, 0xbf7ee86f, v194
	v_mul_f32_e32 v140, 0xbf7ee86f, v36
	v_add_f32_e32 v1, v59, v1
	v_add_f32_e32 v38, v57, v38
	;; [unrolled: 1-line block ×3, first 2 shown]
	v_fmamk_f32 v57, v79, 0x3dbcf732, v124
	v_fma_f32 v58, 0x3dbcf732, v81, -v131
	v_fmamk_f32 v59, v70, 0x3dbcf732, v140
	v_mul_f32_e32 v106, 0xbe3c28d5, v41
	v_mul_f32_e32 v148, 0xbf7ee86f, v37
	v_add_f32_e32 v38, v57, v38
	v_add_f32_e32 v39, v58, v39
	;; [unrolled: 1-line block ×3, first 2 shown]
	v_fmamk_f32 v58, v47, 0xbf7ba420, v106
	v_fma_f32 v59, 0x3dbcf732, v71, -v148
	v_mul_f32_e32 v117, 0xbe3c28d5, v40
	v_mul_f32_e32 v108, 0x3f763a35, v43
	;; [unrolled: 1-line block ×3, first 2 shown]
	v_add_f32_e32 v57, v58, v57
	v_add_f32_e32 v58, v59, v9
	v_fma_f32 v59, 0xbf7ba420, v50, -v117
	v_fmamk_f32 v60, v52, 0xbe8c1d8e, v108
	v_mul_f32_e32 v121, 0x3f763a35, v42
	v_mul_f32_e32 v110, 0x3eb8f4ab, v94
	v_fmamk_f32 v61, v82, 0xbf59a7d5, v133
	v_add_f32_e32 v58, v59, v58
	v_add_f32_e32 v59, v60, v57
	v_fma_f32 v60, 0xbe8c1d8e, v53, -v121
	v_fmamk_f32 v62, v55, 0x3f6eb680, v110
	v_mul_f32_e32 v123, 0x3eb8f4ab, v187
	v_mul_f32_e32 v111, 0xbf65296c, v189
	v_add_f32_e32 v57, v61, v38
	v_add_f32_e32 v38, v60, v58
	;; [unrolled: 1-line block ×3, first 2 shown]
	v_fma_f32 v59, 0x3f6eb680, v67, -v123
	v_fmamk_f32 v60, v65, 0x3ee437d1, v111
	v_mul_f32_e32 v125, 0xbf65296c, v190
	v_mul_f32_e32 v115, 0xbf06c442, v191
	;; [unrolled: 1-line block ×3, first 2 shown]
	v_add_f32_e32 v38, v59, v38
	v_add_f32_e32 v58, v60, v58
	v_fma_f32 v59, 0x3ee437d1, v69, -v125
	v_fmamk_f32 v60, v73, 0xbf59a7d5, v115
	v_mul_f32_e32 v130, 0xbf06c442, v192
	v_fma_f32 v61, 0xbf59a7d5, v84, -v135
	v_mul_f32_e32 v128, 0x3f4c4adb, v194
	v_add_f32_e32 v38, v59, v38
	v_add_f32_e32 v59, v60, v58
	v_fma_f32 v60, 0xbf59a7d5, v75, -v130
	v_mul_f32_e32 v167, 0xbf763a35, v36
	v_mul_f32_e32 v118, 0x3f4c4adb, v193
	v_add_f32_e32 v58, v61, v39
	v_fma_f32 v39, 0xbf1a4643, v81, -v128
	v_add_f32_e32 v38, v60, v38
	v_fmamk_f32 v60, v70, 0xbe8c1d8e, v167
	v_mul_f32_e32 v141, 0x3f06c442, v41
	v_mul_f32_e32 v169, 0xbf763a35, v37
	v_fmamk_f32 v62, v79, 0xbf1a4643, v118
	v_add_f32_e32 v38, v39, v38
	v_mul_f32_e32 v113, 0x3f2c7751, v195
	v_add_f32_e32 v39, v60, v8
	v_fmamk_f32 v60, v47, 0xbf59a7d5, v141
	v_fma_f32 v61, 0xbe8c1d8e, v71, -v169
	v_mul_f32_e32 v151, 0x3f06c442, v40
	v_mul_f32_e32 v145, 0x3f2c7751, v43
	v_add_f32_e32 v59, v62, v59
	v_fmamk_f32 v62, v82, 0x3f3d2fb0, v113
	v_add_f32_e32 v39, v60, v39
	v_add_f32_e32 v60, v61, v9
	v_fma_f32 v61, 0xbf59a7d5, v50, -v151
	v_fmamk_f32 v134, v52, 0x3f3d2fb0, v145
	v_mul_f32_e32 v156, 0x3f2c7751, v42
	v_mul_f32_e32 v147, 0xbf65296c, v94
	v_add_f32_e32 v59, v62, v59
	v_add_f32_e32 v60, v61, v60
	;; [unrolled: 1-line block ×3, first 2 shown]
	v_fma_f32 v61, 0x3f3d2fb0, v53, -v156
	v_fmamk_f32 v62, v55, 0x3ee437d1, v147
	v_mul_f32_e32 v159, 0xbf65296c, v187
	v_mul_f32_e32 v152, 0xbe3c28d5, v189
	v_mul_f32_e32 v134, 0x3f2c7751, v196
	v_add_f32_e32 v60, v61, v60
	v_add_f32_e32 v39, v62, v39
	v_fma_f32 v61, 0x3ee437d1, v67, -v159
	v_fmamk_f32 v62, v65, 0xbf7ba420, v152
	v_mul_f32_e32 v162, 0xbe3c28d5, v190
	v_mul_f32_e32 v155, 0x3f7ee86f, v191
	v_fma_f32 v138, 0x3f3d2fb0, v84, -v134
	v_add_f32_e32 v61, v61, v60
	v_add_f32_e32 v39, v62, v39
	v_fma_f32 v62, 0xbf7ba420, v69, -v162
	v_mul_f32_e32 v164, 0x3f7ee86f, v192
	v_fmamk_f32 v139, v73, 0x3dbcf732, v155
	v_mul_f32_e32 v158, 0xbeb8f4ab, v193
	v_add_f32_e32 v60, v138, v38
	v_add_f32_e32 v38, v62, v61
	v_fma_f32 v61, 0x3dbcf732, v75, -v164
	v_add_f32_e32 v39, v139, v39
	v_fmamk_f32 v62, v79, 0x3f6eb680, v158
	v_mul_f32_e32 v165, 0xbeb8f4ab, v194
	v_mul_f32_e32 v170, 0xbf4c4adb, v36
	;; [unrolled: 1-line block ×3, first 2 shown]
	v_add_f32_e32 v38, v61, v38
	v_add_f32_e32 v39, v62, v39
	v_fma_f32 v61, 0x3f6eb680, v81, -v165
	v_fmamk_f32 v62, v70, 0xbf1a4643, v170
	v_mul_f32_e32 v138, 0x3f763a35, v41
	v_fma_f32 v139, 0xbf1a4643, v71, -v171
	v_mul_f32_e32 v144, 0x3f763a35, v40
	v_add_f32_e32 v38, v61, v38
	v_add_f32_e32 v61, v62, v8
	v_fmamk_f32 v62, v47, 0xbe8c1d8e, v138
	v_add_f32_e32 v142, v139, v9
	v_fma_f32 v143, 0xbe8c1d8e, v50, -v144
	v_mul_f32_e32 v139, 0xbeb8f4ab, v43
	v_mul_f32_e32 v149, 0xbeb8f4ab, v42
	;; [unrolled: 1-line block ×3, first 2 shown]
	v_add_f32_e32 v61, v62, v61
	v_add_f32_e32 v62, v143, v142
	v_fmamk_f32 v143, v52, 0x3f6eb680, v139
	v_fma_f32 v146, 0x3f6eb680, v53, -v149
	v_mul_f32_e32 v142, 0xbf06c442, v94
	v_mul_f32_e32 v154, 0xbf06c442, v187
	v_fmamk_f32 v150, v82, 0xbf1a4643, v166
	v_add_f32_e32 v143, v143, v61
	v_add_f32_e32 v62, v146, v62
	v_fmamk_f32 v153, v55, 0xbf59a7d5, v142
	v_fma_f32 v157, 0xbf59a7d5, v67, -v154
	v_mul_f32_e32 v146, 0x3f7ee86f, v189
	v_mul_f32_e32 v160, 0x3f7ee86f, v190
	v_add_f32_e32 v61, v150, v39
	v_add_f32_e32 v39, v153, v143
	;; [unrolled: 1-line block ×3, first 2 shown]
	v_fmamk_f32 v143, v65, 0x3dbcf732, v146
	v_fma_f32 v153, 0x3dbcf732, v69, -v160
	v_mul_f32_e32 v150, 0xbf2c7751, v191
	v_mul_f32_e32 v161, 0xbf2c7751, v192
	;; [unrolled: 1-line block ×3, first 2 shown]
	v_add_f32_e32 v39, v143, v39
	v_add_f32_e32 v62, v153, v62
	v_fmamk_f32 v143, v73, 0x3f3d2fb0, v150
	v_mul_f32_e32 v153, 0xbe3c28d5, v193
	v_fma_f32 v157, 0x3f3d2fb0, v75, -v161
	v_mul_f32_e32 v163, 0xbe3c28d5, v194
	v_fma_f32 v172, 0xbf1a4643, v84, -v168
	v_add_f32_e32 v39, v143, v39
	v_fmamk_f32 v143, v79, 0xbf7ba420, v153
	v_add_f32_e32 v157, v157, v62
	v_fma_f32 v173, 0xbf7ba420, v81, -v163
	v_mul_f32_e32 v184, 0xbf06c442, v36
	v_add_f32_e32 v62, v172, v38
	v_add_f32_e32 v38, v143, v39
	v_mul_f32_e32 v172, 0x3f65296c, v41
	v_add_f32_e32 v39, v173, v157
	v_fmamk_f32 v173, v70, 0xbf59a7d5, v184
	v_mul_f32_e32 v188, 0xbf06c442, v37
	v_mul_f32_e32 v179, 0x3f65296c, v40
	v_fmamk_f32 v175, v47, 0x3ee437d1, v172
	v_mul_f32_e32 v180, 0xbf7ee86f, v42
	v_add_f32_e32 v174, v173, v8
	v_mul_f32_e32 v173, 0xbf7ee86f, v43
	v_fma_f32 v176, 0xbf59a7d5, v71, -v188
	v_fma_f32 v178, 0x3ee437d1, v50, -v179
	;; [unrolled: 1-line block ×3, first 2 shown]
	v_add_f32_e32 v175, v175, v174
	v_fmamk_f32 v177, v52, 0x3dbcf732, v173
	v_mul_f32_e32 v174, 0x3f4c4adb, v94
	v_add_f32_e32 v176, v176, v9
	v_mul_f32_e32 v181, 0x3f4c4adb, v187
	v_mul_f32_e32 v185, 0xbeb8f4ab, v190
	v_add_f32_e32 v177, v177, v175
	v_fmamk_f32 v182, v55, 0xbf1a4643, v174
	v_mul_f32_e32 v175, 0xbeb8f4ab, v189
	v_add_f32_e32 v178, v178, v176
	v_mul_f32_e32 v176, 0xbe3c28d5, v191
	v_fma_f32 v200, 0x3f6eb680, v69, -v185
	v_add_f32_e32 v177, v182, v177
	v_fmamk_f32 v182, v65, 0x3f6eb680, v175
	v_add_f32_e32 v178, v183, v178
	v_fma_f32 v183, 0xbf1a4643, v67, -v181
	v_fmamk_f32 v198, v73, 0xbf7ba420, v176
	v_mul_f32_e32 v143, 0x3f65296c, v195
	v_add_f32_e32 v182, v182, v177
	v_mul_f32_e32 v157, 0x3f65296c, v196
	v_add_f32_e32 v199, v183, v178
	v_mul_f32_e32 v183, 0xbe3c28d5, v192
	v_mul_f32_e32 v177, 0x3f2c7751, v193
	v_add_f32_e32 v198, v198, v182
	v_mul_f32_e32 v182, 0x3f2c7751, v194
	v_add_f32_e32 v199, v200, v199
	v_fma_f32 v200, 0xbf7ba420, v75, -v183
	v_fmamk_f32 v186, v82, 0x3ee437d1, v143
	v_fma_f32 v197, 0x3ee437d1, v84, -v157
	v_fmamk_f32 v201, v79, 0x3f3d2fb0, v177
	v_mul_f32_e32 v178, 0xbf763a35, v195
	v_add_f32_e32 v199, v200, v199
	v_fma_f32 v200, 0x3f3d2fb0, v81, -v182
	v_mul_f32_e32 v37, 0xbe3c28d5, v37
	v_add_f32_e32 v38, v186, v38
	v_add_f32_e32 v186, v201, v198
	v_fmamk_f32 v198, v82, 0xbe8c1d8e, v178
	v_mul_f32_e32 v201, 0xbe3c28d5, v36
	v_add_f32_e32 v39, v197, v39
	v_add_f32_e32 v197, v200, v199
	v_fmamk_f32 v199, v71, 0xbf7ba420, v37
	v_mul_f32_e32 v40, 0x3eb8f4ab, v40
	v_add_f32_e32 v36, v198, v186
	v_fma_f32 v198, 0xbf7ba420, v70, -v201
	v_mul_f32_e32 v41, 0x3eb8f4ab, v41
	v_add_f32_e32 v199, v199, v9
	v_fmamk_f32 v202, v50, 0x3f6eb680, v40
	v_mul_f32_e32 v42, 0xbf06c442, v42
	v_fmac_f32_e32 v201, 0xbf7ba420, v70
	v_fma_f32 v37, 0xbf7ba420, v71, -v37
	v_add_f32_e32 v198, v198, v8
	v_fma_f32 v200, 0x3f6eb680, v47, -v41
	v_mul_f32_e32 v43, 0xbf06c442, v43
	v_add_f32_e32 v199, v202, v199
	v_fmamk_f32 v202, v53, 0xbf59a7d5, v42
	v_mul_f32_e32 v187, 0x3f2c7751, v187
	v_add_f32_e32 v201, v201, v8
	v_fmac_f32_e32 v41, 0x3f6eb680, v47
	v_add_f32_e32 v37, v37, v9
	v_fma_f32 v40, 0x3f6eb680, v50, -v40
	v_add_f32_e32 v198, v200, v198
	v_fma_f32 v200, 0xbf59a7d5, v52, -v43
	v_mul_f32_e32 v94, 0x3f2c7751, v94
	v_add_f32_e32 v199, v202, v199
	v_fmamk_f32 v202, v67, 0x3f3d2fb0, v187
	v_mul_f32_e32 v190, 0xbf4c4adb, v190
	v_add_f32_e32 v41, v41, v201
	v_fmac_f32_e32 v43, 0xbf59a7d5, v52
	v_add_f32_e32 v37, v40, v37
	;; [unrolled: 10-line block ×4, first 2 shown]
	v_fma_f32 v40, 0xbf1a4643, v69, -v190
	v_add_f32_e32 v198, v200, v198
	v_fma_f32 v200, 0x3ee437d1, v73, -v191
	v_add_f32_e32 v199, v202, v199
	v_mul_f32_e32 v193, 0xbf763a35, v193
	v_fmamk_f32 v187, v81, 0xbe8c1d8e, v42
	v_add_f32_e32 v41, v189, v41
	v_fmac_f32_e32 v191, 0x3ee437d1, v73
	v_add_f32_e32 v37, v40, v37
	v_fma_f32 v40, 0x3ee437d1, v75, -v192
	s_load_dwordx2 s[2:3], s[4:5], 0x20
	v_mul_f32_e32 v186, 0xbf763a35, v196
	v_add_f32_e32 v198, v200, v198
	v_fma_f32 v43, 0xbe8c1d8e, v79, -v193
	v_add_f32_e32 v94, v187, v199
	v_mul_f32_e32 v187, 0x3f7ee86f, v195
	v_mul_f32_e32 v189, 0x3f7ee86f, v196
	v_add_f32_e32 v41, v191, v41
	v_fmac_f32_e32 v193, 0xbe8c1d8e, v79
	v_add_f32_e32 v37, v40, v37
	v_fma_f32 v40, 0xbe8c1d8e, v81, -v42
	v_fma_f32 v203, 0xbe8c1d8e, v84, -v186
	v_add_f32_e32 v43, v43, v198
	v_fma_f32 v42, 0x3dbcf732, v82, -v187
	v_fmamk_f32 v190, v84, 0x3dbcf732, v189
	v_add_f32_e32 v191, v193, v41
	v_fmac_f32_e32 v187, 0x3dbcf732, v82
	v_add_f32_e32 v192, v40, v37
	v_fma_f32 v189, 0x3dbcf732, v84, -v189
	v_add_f32_e32 v37, v203, v197
	v_add_f32_e32 v40, v42, v43
	;; [unrolled: 1-line block ×5, first 2 shown]
	v_mul_lo_u16 v94, v92, 17
	s_waitcnt lgkmcnt(0)
	s_barrier
	buffer_gl0_inv
	s_and_saveexec_b32 s0, vcc_lo
	s_cbranch_execz .LBB0_7
; %bb.6:
	v_add_f32_e32 v11, v11, v9
	v_add_f32_e32 v10, v10, v8
	;; [unrolled: 1-line block ×4, first 2 shown]
	v_mul_f32_e32 v21, 0xbe8c1d8e, v70
	v_mul_f32_e32 v20, 0xbe8c1d8e, v71
	v_add_f32_e32 v11, v23, v11
	v_add_f32_e32 v10, v22, v10
	v_mul_f32_e32 v23, 0x3dbcf732, v70
	v_sub_f32_e32 v21, v21, v167
	v_mul_f32_e32 v22, 0x3dbcf732, v71
	v_add_f32_e32 v11, v29, v11
	v_add_f32_e32 v10, v28, v10
	v_mul_f32_e32 v29, 0x3f6eb680, v70
	v_sub_f32_e32 v23, v23, v140
	v_mul_f32_e32 v28, 0x3f6eb680, v71
	v_add_f32_e32 v11, v31, v11
	v_add_f32_e32 v10, v30, v10
	v_sub_f32_e32 v29, v29, v76
	v_add_f32_e32 v20, v169, v20
	v_add_f32_e32 v22, v148, v22
	;; [unrolled: 1-line block ×14, first 2 shown]
	v_mul_f32_e32 v25, 0x3ee437d1, v70
	v_mul_f32_e32 v24, 0x3ee437d1, v71
	v_add_f32_e32 v28, v28, v9
	v_add_f32_e32 v11, v27, v11
	;; [unrolled: 1-line block ×3, first 2 shown]
	v_mul_f32_e32 v27, 0x3f3d2fb0, v70
	v_sub_f32_e32 v25, v25, v136
	v_mul_f32_e32 v26, 0x3f3d2fb0, v71
	v_add_f32_e32 v11, v17, v11
	v_add_f32_e32 v10, v16, v10
	v_mul_f32_e32 v17, 0xbf59a7d5, v70
	v_mul_f32_e32 v16, 0xbf59a7d5, v71
	v_sub_f32_e32 v27, v27, v126
	v_add_f32_e32 v11, v19, v11
	v_mul_f32_e32 v19, 0xbf1a4643, v70
	v_add_f32_e32 v10, v18, v10
	v_sub_f32_e32 v17, v17, v184
	v_mul_f32_e32 v18, 0xbf1a4643, v71
	v_add_f32_e32 v16, v188, v16
	v_sub_f32_e32 v19, v19, v170
	v_add_f32_e32 v24, v137, v24
	v_add_f32_e32 v26, v132, v26
	;; [unrolled: 1-line block ×14, first 2 shown]
	v_mul_f32_e32 v8, 0x3ee437d1, v50
	v_mul_f32_e32 v10, 0x3ee437d1, v47
	;; [unrolled: 1-line block ×3, first 2 shown]
	v_add_f32_e32 v14, v14, v9
	v_mul_f32_e32 v9, 0x3dbcf732, v53
	v_add_f32_e32 v8, v179, v8
	v_sub_f32_e32 v10, v10, v172
	v_add_f32_e32 v11, v183, v11
	v_mul_f32_e32 v13, 0x3f3d2fb0, v52
	v_add_f32_e32 v9, v180, v9
	v_add_f32_e32 v8, v8, v16
	v_mul_f32_e32 v16, 0x3f6eb680, v75
	v_mul_f32_e32 v31, 0x3f3d2fb0, v47
	v_sub_f32_e32 v13, v13, v145
	v_mul_f32_e32 v32, 0xbf59a7d5, v79
	v_add_f32_e32 v8, v9, v8
	v_mul_f32_e32 v9, 0xbf1a4643, v67
	v_add_f32_e32 v16, v129, v16
	v_sub_f32_e32 v31, v31, v48
	v_sub_f32_e32 v32, v32, v78
	v_add_f32_e32 v4, v4, v14
	v_add_f32_e32 v9, v181, v9
	v_mul_f32_e32 v33, 0x3f6eb680, v82
	v_add_f32_e32 v29, v31, v29
	v_mul_f32_e32 v31, 0x3ee437d1, v52
	v_add_f32_e32 v4, v6, v4
	v_add_f32_e32 v8, v9, v8
	v_mul_f32_e32 v9, 0x3f6eb680, v69
	v_sub_f32_e32 v33, v33, v87
	v_sub_f32_e32 v31, v31, v51
	v_add_f32_e32 v9, v185, v9
	v_add_f32_e32 v29, v31, v29
	v_mul_f32_e32 v31, 0x3dbcf732, v55
	v_add_f32_e32 v8, v9, v8
	v_add_f32_e32 v9, v10, v17
	v_mul_f32_e32 v10, 0x3dbcf732, v52
	v_sub_f32_e32 v31, v31, v54
	v_add_f32_e32 v8, v11, v8
	v_mul_f32_e32 v11, 0x3f3d2fb0, v81
	v_sub_f32_e32 v10, v10, v173
	v_add_f32_e32 v29, v31, v29
	v_mul_f32_e32 v31, 0xbe8c1d8e, v65
	v_add_f32_e32 v11, v182, v11
	v_add_f32_e32 v9, v10, v9
	v_mul_f32_e32 v10, 0xbf1a4643, v55
	v_sub_f32_e32 v31, v31, v64
	v_add_f32_e32 v8, v11, v8
	v_mul_f32_e32 v11, 0xbe8c1d8e, v84
	v_sub_f32_e32 v10, v10, v174
	v_add_f32_e32 v29, v31, v29
	v_mul_f32_e32 v31, 0xbf1a4643, v73
	v_add_f32_e32 v11, v186, v11
	v_add_f32_e32 v9, v10, v9
	v_mul_f32_e32 v10, 0x3f6eb680, v65
	v_sub_f32_e32 v31, v31, v72
	v_sub_f32_e32 v10, v10, v175
	v_add_f32_e32 v29, v31, v29
	v_mul_f32_e32 v31, 0xbf7ba420, v84
	v_add_f32_e32 v9, v10, v9
	v_mul_f32_e32 v10, 0xbf7ba420, v73
	v_sub_f32_e32 v10, v10, v176
	v_add_f32_e32 v9, v10, v9
	v_mul_f32_e32 v10, 0x3f3d2fb0, v79
	v_sub_f32_e32 v10, v10, v177
	;; [unrolled: 3-line block ×3, first 2 shown]
	v_add_f32_e32 v9, v11, v8
	v_mul_f32_e32 v11, 0x3f3d2fb0, v53
	v_add_f32_e32 v8, v12, v10
	v_mul_f32_e32 v10, 0xbf59a7d5, v50
	;; [unrolled: 2-line block ×3, first 2 shown]
	v_add_f32_e32 v10, v151, v10
	v_sub_f32_e32 v12, v12, v141
	v_add_f32_e32 v10, v10, v20
	v_mul_f32_e32 v20, 0xbf7ba420, v47
	v_add_f32_e32 v12, v12, v21
	v_mul_f32_e32 v21, 0xbe8c1d8e, v52
	;; [unrolled: 2-line block ×4, first 2 shown]
	v_sub_f32_e32 v20, v20, v106
	v_sub_f32_e32 v21, v21, v108
	v_add_f32_e32 v11, v159, v11
	v_sub_f32_e32 v13, v13, v147
	v_add_f32_e32 v20, v20, v23
	v_add_f32_e32 v10, v11, v10
	v_mul_f32_e32 v11, 0xbf7ba420, v69
	v_add_f32_e32 v12, v13, v12
	v_mul_f32_e32 v13, 0xbf7ba420, v65
	;; [unrolled: 2-line block ×3, first 2 shown]
	v_add_f32_e32 v11, v162, v11
	v_sub_f32_e32 v13, v13, v152
	v_sub_f32_e32 v21, v21, v110
	v_add_f32_e32 v10, v11, v10
	v_mul_f32_e32 v11, 0x3dbcf732, v75
	v_add_f32_e32 v12, v13, v12
	v_mul_f32_e32 v13, 0x3dbcf732, v73
	v_add_f32_e32 v11, v164, v11
	v_sub_f32_e32 v13, v13, v155
	v_add_f32_e32 v10, v11, v10
	v_mul_f32_e32 v11, 0x3f6eb680, v81
	v_add_f32_e32 v11, v165, v11
	v_add_f32_e32 v10, v11, v10
	;; [unrolled: 1-line block ×3, first 2 shown]
	v_mul_f32_e32 v12, 0x3f6eb680, v79
	v_mul_f32_e32 v13, 0xbf1a4643, v84
	v_sub_f32_e32 v12, v12, v158
	v_add_f32_e32 v13, v168, v13
	v_add_f32_e32 v12, v12, v11
	v_mul_f32_e32 v11, 0xbf1a4643, v82
	v_sub_f32_e32 v15, v11, v166
	v_add_f32_e32 v11, v13, v10
	v_mul_f32_e32 v13, 0xbf7ba420, v53
	v_add_f32_e32 v10, v15, v12
	v_mul_f32_e32 v12, 0xbf1a4643, v50
	;; [unrolled: 2-line block ×3, first 2 shown]
	v_add_f32_e32 v12, v114, v12
	v_sub_f32_e32 v15, v15, v107
	v_add_f32_e32 v12, v12, v24
	v_add_f32_e32 v12, v13, v12
	v_mul_f32_e32 v13, 0xbe8c1d8e, v67
	v_add_f32_e32 v13, v122, v13
	v_add_f32_e32 v12, v13, v12
	v_mul_f32_e32 v13, 0x3f3d2fb0, v69
	v_add_f32_e32 v13, v127, v13
	v_add_f32_e32 v12, v13, v12
	;; [unrolled: 1-line block ×3, first 2 shown]
	v_mul_f32_e32 v15, 0xbf7ba420, v52
	v_mul_f32_e32 v25, 0xbf1a4643, v52
	v_add_f32_e32 v12, v16, v12
	v_mul_f32_e32 v16, 0x3dbcf732, v81
	v_sub_f32_e32 v15, v15, v109
	v_sub_f32_e32 v25, v25, v88
	v_add_f32_e32 v16, v131, v16
	v_add_f32_e32 v13, v15, v13
	v_mul_f32_e32 v15, 0xbe8c1d8e, v55
	v_add_f32_e32 v12, v16, v12
	v_mul_f32_e32 v16, 0xbf59a7d5, v84
	v_sub_f32_e32 v15, v15, v112
	v_add_f32_e32 v16, v135, v16
	v_add_f32_e32 v13, v15, v13
	v_mul_f32_e32 v15, 0x3f3d2fb0, v65
	v_sub_f32_e32 v15, v15, v116
	v_add_f32_e32 v13, v15, v13
	v_mul_f32_e32 v15, 0x3f6eb680, v73
	v_sub_f32_e32 v15, v15, v120
	v_add_f32_e32 v13, v15, v13
	v_mul_f32_e32 v15, 0x3dbcf732, v79
	v_sub_f32_e32 v15, v15, v124
	v_add_f32_e32 v15, v15, v13
	v_mul_f32_e32 v13, 0xbf59a7d5, v82
	v_sub_f32_e32 v17, v13, v133
	v_add_f32_e32 v13, v16, v12
	v_mul_f32_e32 v16, 0x3f6eb680, v53
	v_add_f32_e32 v12, v17, v15
	v_mul_f32_e32 v15, 0xbe8c1d8e, v50
	;; [unrolled: 2-line block ×3, first 2 shown]
	v_add_f32_e32 v15, v144, v15
	v_sub_f32_e32 v17, v17, v138
	v_add_f32_e32 v15, v15, v18
	v_mul_f32_e32 v18, 0x3f3d2fb0, v75
	v_add_f32_e32 v15, v16, v15
	v_mul_f32_e32 v16, 0xbf59a7d5, v67
	v_add_f32_e32 v18, v161, v18
	v_add_f32_e32 v16, v154, v16
	v_add_f32_e32 v15, v16, v15
	v_mul_f32_e32 v16, 0x3dbcf732, v69
	v_add_f32_e32 v16, v160, v16
	v_add_f32_e32 v15, v16, v15
	;; [unrolled: 1-line block ×3, first 2 shown]
	v_mul_f32_e32 v17, 0x3f6eb680, v52
	v_mul_f32_e32 v19, 0xbf7ba420, v50
	v_add_f32_e32 v15, v18, v15
	v_mul_f32_e32 v18, 0xbf7ba420, v81
	v_sub_f32_e32 v17, v17, v139
	v_add_f32_e32 v19, v117, v19
	v_add_f32_e32 v18, v163, v18
	v_add_f32_e32 v16, v17, v16
	v_mul_f32_e32 v17, 0xbf59a7d5, v55
	v_add_f32_e32 v15, v18, v15
	v_mul_f32_e32 v18, 0xbe8c1d8e, v53
	v_sub_f32_e32 v17, v17, v142
	v_add_f32_e32 v18, v121, v18
	v_add_f32_e32 v16, v17, v16
	v_mul_f32_e32 v17, 0x3dbcf732, v65
	v_sub_f32_e32 v17, v17, v146
	v_add_f32_e32 v16, v17, v16
	v_mul_f32_e32 v17, 0x3f3d2fb0, v73
	v_sub_f32_e32 v17, v17, v150
	v_add_f32_e32 v16, v17, v16
	v_add_f32_e32 v17, v19, v22
	v_mul_f32_e32 v19, 0xbf7ba420, v79
	v_mul_f32_e32 v22, 0x3ee437d1, v84
	v_add_f32_e32 v17, v18, v17
	v_mul_f32_e32 v18, 0x3f6eb680, v67
	v_sub_f32_e32 v19, v19, v153
	v_add_f32_e32 v22, v157, v22
	v_add_f32_e32 v18, v123, v18
	v_add_f32_e32 v23, v19, v16
	v_mul_f32_e32 v19, 0xbf1a4643, v81
	v_add_f32_e32 v15, v22, v15
	v_add_f32_e32 v22, v5, v30
	v_add_f32_e32 v17, v18, v17
	v_mul_f32_e32 v18, 0x3ee437d1, v69
	;; [unrolled: 4-line block ×3, first 2 shown]
	v_add_f32_e32 v18, v130, v18
	v_add_f32_e32 v16, v18, v17
	v_mul_f32_e32 v18, 0x3ee437d1, v65
	v_add_f32_e32 v17, v21, v20
	v_mul_f32_e32 v21, 0x3f3d2fb0, v84
	v_mul_f32_e32 v20, 0x3ee437d1, v82
	v_add_f32_e32 v16, v19, v16
	v_sub_f32_e32 v18, v18, v111
	v_mul_f32_e32 v19, 0x3dbcf732, v50
	v_add_f32_e32 v21, v134, v21
	v_sub_f32_e32 v20, v20, v143
	v_add_f32_e32 v17, v18, v17
	v_mul_f32_e32 v18, 0xbf59a7d5, v73
	v_add_f32_e32 v19, v96, v19
	v_add_f32_e32 v5, v21, v16
	;; [unrolled: 1-line block ×3, first 2 shown]
	v_and_b32_e32 v21, 0xffff, v94
	v_sub_f32_e32 v18, v18, v115
	v_add_lshl_u32 v21, v46, v21, 3
	v_add_f32_e32 v17, v18, v17
	v_mul_f32_e32 v18, 0xbf1a4643, v79
	v_sub_f32_e32 v18, v18, v118
	v_add_f32_e32 v24, v18, v17
	v_add_f32_e32 v17, v19, v26
	v_mul_f32_e32 v19, 0x3dbcf732, v47
	v_mul_f32_e32 v18, 0xbf1a4643, v53
	;; [unrolled: 1-line block ×3, first 2 shown]
	v_sub_f32_e32 v19, v19, v86
	v_add_f32_e32 v18, v98, v18
	v_sub_f32_e32 v26, v26, v113
	v_add_f32_e32 v19, v19, v27
	v_mul_f32_e32 v27, 0x3f3d2fb0, v50
	v_add_f32_e32 v17, v18, v17
	v_mul_f32_e32 v18, 0xbf7ba420, v67
	v_add_f32_e32 v19, v25, v19
	v_add_f32_e32 v27, v49, v27
	v_mul_f32_e32 v25, 0xbf7ba420, v55
	v_add_f32_e32 v18, v100, v18
	;; [unrolled: 3-line block ×3, first 2 shown]
	v_mul_f32_e32 v18, 0xbf59a7d5, v69
	v_sub_f32_e32 v25, v25, v95
	v_add_f32_e32 v28, v63, v28
	v_add_f32_e32 v18, v102, v18
	;; [unrolled: 1-line block ×3, first 2 shown]
	v_mul_f32_e32 v25, 0xbf59a7d5, v65
	v_add_f32_e32 v27, v28, v27
	v_mul_f32_e32 v28, 0x3dbcf732, v67
	v_add_f32_e32 v17, v18, v17
	v_mul_f32_e32 v18, 0xbe8c1d8e, v75
	v_sub_f32_e32 v25, v25, v97
	v_add_f32_e32 v28, v66, v28
	v_add_f32_e32 v18, v103, v18
	;; [unrolled: 1-line block ×3, first 2 shown]
	v_mul_f32_e32 v25, 0xbe8c1d8e, v73
	v_add_f32_e32 v27, v28, v27
	v_mul_f32_e32 v28, 0xbe8c1d8e, v69
	v_add_f32_e32 v17, v18, v17
	v_mul_f32_e32 v18, 0x3ee437d1, v81
	v_sub_f32_e32 v25, v25, v99
	v_add_f32_e32 v28, v68, v28
	v_add_f32_e32 v18, v104, v18
	;; [unrolled: 1-line block ×3, first 2 shown]
	v_mul_f32_e32 v28, 0xbf1a4643, v75
	v_add_f32_e32 v17, v18, v17
	v_add_f32_e32 v18, v25, v19
	v_mul_f32_e32 v19, 0x3ee437d1, v79
	v_mul_f32_e32 v25, 0x3f6eb680, v84
	v_add_f32_e32 v28, v74, v28
	v_sub_f32_e32 v19, v19, v101
	v_add_f32_e32 v25, v105, v25
	v_add_f32_e32 v27, v28, v27
	v_mul_f32_e32 v28, 0xbf59a7d5, v81
	v_add_f32_e32 v34, v19, v18
	v_add_f32_e32 v19, v85, v31
	;; [unrolled: 1-line block ×5, first 2 shown]
	v_mul_f32_e32 v28, 0xbf7ba420, v82
	v_add_f32_e32 v27, v32, v29
	v_add_f32_e32 v7, v19, v18
	v_sub_f32_e32 v14, v28, v83
	v_add_f32_e32 v19, v45, v16
	v_add_f32_e32 v18, v44, v4
	;; [unrolled: 1-line block ×6, first 2 shown]
	ds_write2_b64 v21, v[18:19], v[6:7] offset1:1
	ds_write2_b64 v21, v[16:17], v[12:13] offset0:2 offset1:3
	ds_write2_b64 v21, v[4:5], v[10:11] offset0:4 offset1:5
	ds_write2_b64 v21, v[14:15], v[8:9] offset0:6 offset1:7
	ds_write2_b64 v21, v[40:41], v[42:43] offset0:8 offset1:9
	ds_write2_b64 v21, v[36:37], v[38:39] offset0:10 offset1:11
	ds_write2_b64 v21, v[61:62], v[59:60] offset0:12 offset1:13
	ds_write2_b64 v21, v[57:58], v[0:1] offset0:14 offset1:15
	ds_write_b64 v21, v[2:3] offset:128
.LBB0_7:
	s_or_b32 exec_lo, exec_lo, s0
	v_add_lshl_u32 v96, v46, v92, 3
	s_waitcnt lgkmcnt(0)
	s_barrier
	buffer_gl0_inv
	s_load_dwordx2 s[8:9], s[4:5], 0x8
	v_add_nc_u32_e32 v4, 0x800, v96
	v_add_nc_u32_e32 v5, 0xc00, v96
	v_cmp_gt_u16_e64 s0, 34, v92
	ds_read2_b64 v[12:15], v96 offset1:68
	ds_read2_b64 v[28:31], v96 offset0:170 offset1:238
	ds_read2_b64 v[24:27], v4 offset0:84 offset1:152
	;; [unrolled: 1-line block ×3, first 2 shown]
	s_and_saveexec_b32 s1, s0
	s_cbranch_execz .LBB0_9
; %bb.8:
	v_add_nc_u32_e32 v4, 0x400, v96
	v_add_nc_u32_e32 v5, 0xe00, v96
	ds_read2_b64 v[40:43], v4 offset0:8 offset1:178
	ds_read2_b64 v[36:39], v5 offset0:28 offset1:198
.LBB0_9:
	s_or_b32 exec_lo, exec_lo, s1
	v_and_b32_e32 v4, 0xff, v92
	v_add_nc_u16 v6, v92, 0x44
	v_add_nc_u16 v7, v92, 0x88
	v_mov_b32_e32 v34, 0x44
	v_mul_lo_u16 v4, 0xf1, v4
	v_and_b32_e32 v8, 0xff, v7
	v_lshrrev_b16 v35, 12, v4
	v_and_b32_e32 v4, 0xff, v6
	v_mul_lo_u16 v8, 0xf1, v8
	v_mul_lo_u16 v5, v35, 17
	;; [unrolled: 1-line block ×3, first 2 shown]
	v_lshrrev_b16 v97, 12, v8
	v_sub_nc_u16 v5, v92, v5
	v_lshrrev_b16 v44, 12, v4
	v_mul_lo_u16 v9, v97, 17
	v_and_b32_e32 v45, 0xff, v5
	v_mul_lo_u16 v8, v44, 17
	v_sub_nc_u16 v7, v7, v9
	s_waitcnt lgkmcnt(0)
	v_mad_u64_u32 v[4:5], null, v45, 24, s[8:9]
	v_sub_nc_u16 v6, v6, v8
	v_and_b32_e32 v98, 0xff, v7
	s_clause 0x1
	global_load_dwordx4 v[16:19], v[4:5], off
	global_load_dwordx2 v[67:68], v[4:5], off offset:16
	v_and_b32_e32 v47, 0xff, v6
	v_mad_u64_u32 v[32:33], null, v98, 24, s[8:9]
	v_mad_u64_u32 v[4:5], null, v47, 24, s[8:9]
	s_clause 0x3
	global_load_dwordx4 v[8:11], v[4:5], off
	global_load_dwordx2 v[65:66], v[4:5], off offset:16
	global_load_dwordx4 v[4:7], v[32:33], off
	global_load_dwordx2 v[63:64], v[32:33], off offset:16
	v_mul_u32_u24_sdwa v32, v35, v34 dst_sel:DWORD dst_unused:UNUSED_PAD src0_sel:WORD_0 src1_sel:DWORD
	v_mul_u32_u24_sdwa v33, v44, v34 dst_sel:DWORD dst_unused:UNUSED_PAD src0_sel:WORD_0 src1_sel:DWORD
	s_load_dwordx4 s[4:7], s[2:3], 0x0
	s_waitcnt vmcnt(0) lgkmcnt(0)
	s_barrier
	v_add_nc_u32_e32 v32, v32, v45
	v_add_nc_u32_e32 v33, v33, v47
	buffer_gl0_inv
	v_add_lshl_u32 v100, v46, v32, 3
	v_add_lshl_u32 v99, v46, v33, 3
	v_mul_f32_e32 v32, v29, v17
	v_mul_f32_e32 v33, v28, v17
	;; [unrolled: 1-line block ×6, first 2 shown]
	v_fma_f32 v28, v28, v16, -v32
	v_fmac_f32_e32 v33, v29, v16
	v_fma_f32 v24, v24, v18, -v35
	v_fmac_f32_e32 v44, v25, v18
	;; [unrolled: 2-line block ×3, first 2 shown]
	v_mul_f32_e32 v21, v31, v9
	v_mul_f32_e32 v29, v30, v9
	v_mul_f32_e32 v25, v27, v11
	v_mul_f32_e32 v32, v26, v11
	v_mul_f32_e32 v35, v23, v66
	v_mul_f32_e32 v45, v22, v66
	v_mul_f32_e32 v48, v43, v5
	v_mul_f32_e32 v49, v42, v5
	v_mul_f32_e32 v50, v37, v7
	v_mul_f32_e32 v51, v36, v7
	v_mul_f32_e32 v52, v39, v64
	v_mul_f32_e32 v53, v38, v64
	v_fma_f32 v30, v30, v8, -v21
	v_fmac_f32_e32 v29, v31, v8
	v_fma_f32 v25, v26, v10, -v25
	v_fmac_f32_e32 v32, v27, v10
	;; [unrolled: 2-line block ×5, first 2 shown]
	v_fma_f32 v26, v38, v63, -v52
	v_sub_f32_e32 v24, v12, v24
	v_sub_f32_e32 v27, v13, v44
	;; [unrolled: 1-line block ×4, first 2 shown]
	v_fmac_f32_e32 v53, v39, v63
	v_sub_f32_e32 v37, v14, v25
	v_sub_f32_e32 v38, v15, v32
	;; [unrolled: 1-line block ×4, first 2 shown]
	v_fma_f32 v35, v12, 2.0, -v24
	v_fma_f32 v36, v13, 2.0, -v27
	;; [unrolled: 1-line block ×4, first 2 shown]
	v_add_f32_e32 v21, v27, v21
	v_sub_f32_e32 v12, v40, v23
	v_sub_f32_e32 v13, v41, v51
	;; [unrolled: 1-line block ×4, first 2 shown]
	v_fma_f32 v44, v14, 2.0, -v37
	v_fma_f32 v45, v15, 2.0, -v38
	;; [unrolled: 1-line block ×4, first 2 shown]
	v_sub_f32_e32 v23, v36, v33
	v_fma_f32 v25, v27, 2.0, -v21
	v_sub_f32_e32 v26, v37, v39
	v_add_f32_e32 v27, v38, v32
	v_fma_f32 v14, v40, 2.0, -v12
	v_fma_f32 v15, v41, 2.0, -v13
	;; [unrolled: 1-line block ×4, first 2 shown]
	v_sub_f32_e32 v20, v24, v20
	v_sub_f32_e32 v22, v35, v28
	v_sub_f32_e32 v30, v44, v30
	v_sub_f32_e32 v31, v45, v29
	v_sub_f32_e32 v32, v12, v43
	v_add_f32_e32 v33, v13, v42
	v_fma_f32 v29, v36, 2.0, -v23
	v_fma_f32 v36, v38, 2.0, -v27
	v_sub_f32_e32 v38, v14, v39
	v_sub_f32_e32 v39, v15, v47
	v_fma_f32 v24, v24, 2.0, -v20
	v_fma_f32 v28, v35, 2.0, -v22
	;; [unrolled: 1-line block ×5, first 2 shown]
	ds_write2_b64 v100, v[22:23], v[20:21] offset0:34 offset1:51
	ds_write2_b64 v100, v[28:29], v[24:25] offset1:17
	ds_write2_b64 v99, v[40:41], v[35:36] offset1:17
	ds_write2_b64 v99, v[30:31], v[26:27] offset0:34 offset1:51
	s_and_saveexec_b32 s1, s0
	s_cbranch_execz .LBB0_11
; %bb.10:
	v_mul_u32_u24_sdwa v20, v97, v34 dst_sel:DWORD dst_unused:UNUSED_PAD src0_sel:WORD_0 src1_sel:DWORD
	v_fma_f32 v13, v13, 2.0, -v33
	v_fma_f32 v12, v12, 2.0, -v32
	;; [unrolled: 1-line block ×4, first 2 shown]
	v_add_nc_u32_e32 v20, v20, v98
	v_add_lshl_u32 v20, v46, v20, 3
	ds_write2_b64 v20, v[14:15], v[12:13] offset1:17
	ds_write2_b64 v20, v[38:39], v[32:33] offset0:34 offset1:51
.LBB0_11:
	s_or_b32 exec_lo, exec_lo, s1
	v_mad_u64_u32 v[34:35], null, 0x48, v92, s[8:9]
	s_waitcnt lgkmcnt(0)
	s_barrier
	buffer_gl0_inv
	v_lshl_add_u32 v95, v92, 3, v93
	s_clause 0x4
	global_load_dwordx4 v[28:31], v[34:35], off offset:408
	global_load_dwordx4 v[24:27], v[34:35], off offset:424
	;; [unrolled: 1-line block ×4, first 2 shown]
	global_load_dwordx2 v[69:70], v[34:35], off offset:472
	v_add_nc_u32_e32 v34, 0x800, v96
	ds_read2_b64 v[40:43], v96 offset1:68
	v_add_nc_u32_e32 v35, 0x400, v95
	ds_read2_b64 v[44:47], v96 offset0:136 offset1:204
	ds_read2_b64 v[48:51], v34 offset0:16 offset1:220
	;; [unrolled: 1-line block ×3, first 2 shown]
	v_add_nc_u32_e32 v34, 0x1000, v96
	v_add_nc_u32_e32 v75, 0xc00, v95
	ds_read2_b64 v[71:74], v34 offset0:32 offset1:100
	v_add_nc_u32_e32 v34, 0x800, v95
	s_waitcnt vmcnt(4) lgkmcnt(4)
	v_mul_f32_e32 v36, v43, v29
	v_mul_f32_e32 v37, v42, v29
	s_waitcnt lgkmcnt(3)
	v_mul_f32_e32 v76, v45, v31
	v_mul_f32_e32 v77, v44, v31
	s_waitcnt vmcnt(3)
	v_mul_f32_e32 v78, v47, v25
	v_mul_f32_e32 v79, v46, v25
	s_waitcnt lgkmcnt(2)
	v_mul_f32_e32 v80, v49, v27
	v_mul_f32_e32 v81, v48, v27
	s_waitcnt vmcnt(2) lgkmcnt(1)
	v_mul_f32_e32 v82, v53, v21
	v_mul_f32_e32 v83, v52, v21
	v_mul_f32_e32 v84, v55, v23
	v_mul_f32_e32 v85, v54, v23
	s_waitcnt vmcnt(1)
	v_mul_f32_e32 v86, v51, v13
	v_mul_f32_e32 v87, v50, v13
	s_waitcnt lgkmcnt(0)
	v_mul_f32_e32 v88, v72, v15
	v_mul_f32_e32 v101, v71, v15
	s_waitcnt vmcnt(0)
	v_mul_f32_e32 v102, v74, v70
	v_mul_f32_e32 v103, v73, v70
	v_fma_f32 v36, v42, v28, -v36
	v_fmac_f32_e32 v37, v43, v28
	v_fma_f32 v42, v44, v30, -v76
	v_fmac_f32_e32 v77, v45, v30
	;; [unrolled: 2-line block ×9, first 2 shown]
	v_add_f32_e32 v50, v40, v42
	v_add_f32_e32 v51, v44, v46
	v_sub_f32_e32 v52, v77, v101
	v_sub_f32_e32 v54, v42, v44
	;; [unrolled: 1-line block ×3, first 2 shown]
	v_add_f32_e32 v71, v42, v48
	v_sub_f32_e32 v72, v44, v42
	v_sub_f32_e32 v73, v46, v48
	v_add_f32_e32 v74, v41, v77
	v_add_f32_e32 v76, v81, v85
	v_sub_f32_e32 v80, v77, v81
	v_add_f32_e32 v84, v77, v101
	v_sub_f32_e32 v77, v81, v77
	v_sub_f32_e32 v86, v85, v101
	v_add_f32_e32 v88, v36, v43
	v_add_f32_e32 v102, v45, v47
	;; [unrolled: 1-line block ×5, first 2 shown]
	v_sub_f32_e32 v78, v44, v46
	v_sub_f32_e32 v104, v79, v103
	;; [unrolled: 1-line block ×5, first 2 shown]
	v_add_f32_e32 v111, v37, v79
	v_sub_f32_e32 v43, v43, v49
	v_sub_f32_e32 v113, v45, v47
	v_add_f32_e32 v44, v50, v44
	v_fma_f32 v118, -0.5, v51, v40
	v_add_f32_e32 v50, v54, v55
	v_fma_f32 v119, -0.5, v71, v40
	v_add_f32_e32 v40, v72, v73
	v_add_f32_e32 v51, v74, v81
	v_fma_f32 v73, -0.5, v76, v41
	v_fma_f32 v74, -0.5, v84, v41
	v_add_f32_e32 v41, v77, v86
	v_add_f32_e32 v45, v88, v45
	v_fma_f32 v55, -0.5, v102, v36
	v_fmac_f32_e32 v36, -0.5, v108
	v_fma_f32 v77, -0.5, v112, v37
	v_fmac_f32_e32 v37, -0.5, v116
	v_sub_f32_e32 v53, v81, v85
	v_sub_f32_e32 v82, v101, v85
	;; [unrolled: 1-line block ×8, first 2 shown]
	v_add_f32_e32 v76, v111, v83
	v_add_f32_e32 v51, v51, v85
	;; [unrolled: 1-line block ×3, first 2 shown]
	v_fmamk_f32 v47, v104, 0x3f737871, v55
	v_fmac_f32_e32 v55, 0xbf737871, v104
	v_fmamk_f32 v84, v105, 0xbf737871, v36
	v_fmac_f32_e32 v36, 0x3f737871, v105
	;; [unrolled: 2-line block ×4, first 2 shown]
	v_sub_f32_e32 v42, v42, v48
	v_add_f32_e32 v54, v80, v82
	v_add_f32_e32 v71, v106, v107
	;; [unrolled: 1-line block ×6, first 2 shown]
	v_fmamk_f32 v81, v53, 0xbf737871, v119
	v_fmac_f32_e32 v119, 0x3f737871, v53
	v_fmamk_f32 v83, v78, 0x3f737871, v74
	v_fmac_f32_e32 v74, 0xbf737871, v78
	v_add_f32_e32 v76, v76, v87
	v_fmac_f32_e32 v47, 0x3f167918, v105
	v_fmac_f32_e32 v55, 0xbf167918, v105
	;; [unrolled: 1-line block ×8, first 2 shown]
	v_fmamk_f32 v46, v52, 0x3f737871, v118
	v_fmac_f32_e32 v118, 0xbf737871, v52
	v_fmamk_f32 v82, v42, 0xbf737871, v73
	v_fmac_f32_e32 v73, 0x3f737871, v42
	v_add_f32_e32 v44, v44, v48
	v_fmac_f32_e32 v81, 0x3f167918, v52
	v_fmac_f32_e32 v119, 0xbf167918, v52
	v_add_f32_e32 v48, v51, v101
	v_fmac_f32_e32 v83, 0xbf167918, v42
	v_fmac_f32_e32 v74, 0x3f167918, v42
	v_add_f32_e32 v42, v45, v49
	v_add_f32_e32 v45, v76, v103
	v_fmac_f32_e32 v47, 0x3e9e377a, v71
	v_fmac_f32_e32 v55, 0x3e9e377a, v71
	;; [unrolled: 1-line block ×16, first 2 shown]
	v_add_f32_e32 v71, v44, v42
	v_add_f32_e32 v72, v48, v45
	v_sub_f32_e32 v40, v44, v42
	v_sub_f32_e32 v41, v48, v45
	v_mul_f32_e32 v42, 0x3f167918, v85
	v_mul_f32_e32 v43, 0x3f737871, v86
	;; [unrolled: 1-line block ×8, first 2 shown]
	v_fmac_f32_e32 v46, 0x3e9e377a, v50
	v_fmac_f32_e32 v118, 0x3e9e377a, v50
	;; [unrolled: 1-line block ×6, first 2 shown]
	v_fma_f32 v37, 0x3f737871, v37, -v44
	v_fma_f32 v45, 0x3f167918, v77, -v45
	v_fmac_f32_e32 v76, 0x3f4f1bbd, v85
	v_fmac_f32_e32 v78, 0x3e9e377a, v86
	v_fma_f32 v47, 0xbf737871, v36, -v48
	v_fma_f32 v77, 0xbf167918, v55, -v49
	v_add_f32_e32 v52, v46, v42
	v_add_f32_e32 v54, v81, v43
	;; [unrolled: 1-line block ×8, first 2 shown]
	v_sub_f32_e32 v42, v46, v42
	v_sub_f32_e32 v44, v81, v43
	;; [unrolled: 1-line block ×8, first 2 shown]
	ds_write_b64 v95, v[71:72]
	ds_write2_b64 v95, v[52:53], v[54:55] offset0:68 offset1:136
	ds_write2_b64 v35, v[48:49], v[50:51] offset0:76 offset1:144
	;; [unrolled: 1-line block ×4, first 2 shown]
	ds_write_b64 v95, v[36:37] offset:4896
	s_waitcnt lgkmcnt(0)
	s_barrier
	buffer_gl0_inv
	s_and_saveexec_b32 s8, vcc_lo
	s_cbranch_execz .LBB0_13
; %bb.12:
	s_add_u32 s2, s12, 0x1540
	s_addc_u32 s3, s13, 0
	v_add_co_u32 v77, s1, s2, v91
	global_load_dwordx2 v[73:74], v91, s[2:3]
	v_add_co_ci_u32_e64 v78, null, s3, 0, s1
	v_add_co_u32 v75, s1, 0x800, v77
	v_or_b32_e32 v35, 0xa00, v91
	v_add_co_ci_u32_e64 v76, s1, 0, v78, s1
	v_add_co_u32 v77, s1, 0x1000, v77
	v_add_co_ci_u32_e64 v78, s1, 0, v78, s1
	s_clause 0x7
	global_load_dwordx2 v[117:118], v91, s[2:3] offset:320
	global_load_dwordx2 v[119:120], v91, s[2:3] offset:640
	;; [unrolled: 1-line block ×6, first 2 shown]
	global_load_dwordx2 v[129:130], v35, s[2:3]
	global_load_dwordx2 v[131:132], v[75:76], off offset:192
	v_or_b32_e32 v35, 0x1400, v91
	s_clause 0x7
	global_load_dwordx2 v[133:134], v[75:76], off offset:832
	global_load_dwordx2 v[135:136], v[75:76], off offset:1152
	global_load_dwordx2 v[137:138], v[75:76], off offset:1472
	global_load_dwordx2 v[139:140], v[77:78], off offset:64
	global_load_dwordx2 v[141:142], v[77:78], off offset:384
	global_load_dwordx2 v[143:144], v[75:76], off offset:1792
	global_load_dwordx2 v[145:146], v[77:78], off offset:704
	global_load_dwordx2 v[147:148], v35, s[2:3]
	ds_read_b64 v[75:76], v95
	s_waitcnt vmcnt(16) lgkmcnt(0)
	v_mul_f32_e32 v35, v76, v74
	v_mul_f32_e32 v78, v75, v74
	v_fma_f32 v77, v75, v73, -v35
	v_fmac_f32_e32 v78, v76, v73
	v_add_nc_u32_e32 v35, 0x1000, v95
	ds_write_b64 v95, v[77:78]
	ds_read2_b64 v[73:76], v95 offset0:40 offset1:80
	ds_read2_b64 v[77:80], v95 offset0:120 offset1:160
	;; [unrolled: 1-line block ×8, first 2 shown]
	s_waitcnt vmcnt(15) lgkmcnt(7)
	v_mul_f32_e32 v150, v74, v118
	v_mul_f32_e32 v149, v73, v118
	s_waitcnt vmcnt(14)
	v_mul_f32_e32 v151, v76, v120
	v_mul_f32_e32 v118, v75, v120
	s_waitcnt vmcnt(13) lgkmcnt(6)
	v_mul_f32_e32 v152, v78, v122
	v_mul_f32_e32 v120, v77, v122
	s_waitcnt vmcnt(12)
	v_mul_f32_e32 v153, v80, v124
	v_mul_f32_e32 v122, v79, v124
	;; [unrolled: 6-line block ×3, first 2 shown]
	s_waitcnt vmcnt(8) lgkmcnt(4)
	v_mul_f32_e32 v156, v86, v132
	v_mul_f32_e32 v128, v85, v132
	;; [unrolled: 1-line block ×4, first 2 shown]
	s_waitcnt vmcnt(7) lgkmcnt(3)
	v_mul_f32_e32 v158, v102, v134
	v_mul_f32_e32 v130, v101, v134
	s_waitcnt vmcnt(6)
	v_mul_f32_e32 v159, v104, v136
	v_mul_f32_e32 v134, v103, v136
	s_waitcnt vmcnt(5) lgkmcnt(2)
	v_mul_f32_e32 v160, v106, v138
	v_mul_f32_e32 v136, v105, v138
	s_waitcnt vmcnt(2)
	v_mul_f32_e32 v161, v108, v144
	v_mul_f32_e32 v138, v107, v144
	s_waitcnt lgkmcnt(1)
	v_mul_f32_e32 v162, v110, v140
	v_mul_f32_e32 v144, v109, v140
	;; [unrolled: 1-line block ×4, first 2 shown]
	s_waitcnt vmcnt(1) lgkmcnt(0)
	v_mul_f32_e32 v164, v114, v146
	v_mul_f32_e32 v142, v113, v146
	s_waitcnt vmcnt(0)
	v_mul_f32_e32 v165, v116, v148
	v_mul_f32_e32 v146, v115, v148
	v_fma_f32 v148, v73, v117, -v150
	v_fmac_f32_e32 v149, v74, v117
	v_fma_f32 v117, v75, v119, -v151
	v_fmac_f32_e32 v118, v76, v119
	;; [unrolled: 2-line block ×16, first 2 shown]
	ds_write2_b64 v95, v[148:149], v[117:118] offset0:40 offset1:80
	ds_write2_b64 v95, v[119:120], v[121:122] offset0:120 offset1:160
	;; [unrolled: 1-line block ×8, first 2 shown]
.LBB0_13:
	s_or_b32 exec_lo, exec_lo, s8
	s_waitcnt lgkmcnt(0)
	s_barrier
	buffer_gl0_inv
	s_and_saveexec_b32 s1, vcc_lo
	s_cbranch_execz .LBB0_15
; %bb.14:
	v_add_nc_u32_e32 v36, 0x800, v95
	v_add_nc_u32_e32 v0, 0x1000, v95
	ds_read2_b64 v[32:35], v36 offset0:184 offset1:224
	ds_read2_b64 v[73:76], v0 offset0:8 offset1:48
	;; [unrolled: 1-line block ×3, first 2 shown]
	ds_read_b64 v[71:72], v95
	ds_read2_b64 v[52:55], v95 offset0:40 offset1:80
	ds_read2_b64 v[48:51], v95 offset0:120 offset1:160
	;; [unrolled: 1-line block ×5, first 2 shown]
	s_waitcnt lgkmcnt(8)
	v_mov_b32_e32 v61, v34
	v_mov_b32_e32 v62, v35
	s_waitcnt lgkmcnt(7)
	v_mov_b32_e32 v59, v73
	v_mov_b32_e32 v60, v74
	v_mov_b32_e32 v57, v75
	v_mov_b32_e32 v58, v76
.LBB0_15:
	s_or_b32 exec_lo, exec_lo, s1
	s_waitcnt lgkmcnt(4)
	v_add_f32_e32 v120, v3, v53
	v_sub_f32_e32 v117, v53, v3
	v_sub_f32_e32 v102, v52, v2
	v_add_f32_e32 v122, v1, v55
	v_add_f32_e32 v101, v2, v52
	v_mul_f32_e32 v35, 0xbf1a4643, v120
	v_mul_f32_e32 v34, 0xbf4c4adb, v117
	;; [unrolled: 1-line block ×3, first 2 shown]
	v_sub_f32_e32 v118, v55, v1
	v_sub_f32_e32 v104, v54, v0
	v_fmamk_f32 v76, v102, 0xbf4c4adb, v35
	v_mul_f32_e32 v83, 0xbe8c1d8e, v122
	v_mul_f32_e32 v82, 0xbf06c442, v117
	;; [unrolled: 1-line block ×4, first 2 shown]
	v_fma_f32 v75, 0xbf1a4643, v101, -v34
	v_fmamk_f32 v78, v102, 0xbf06c442, v85
	v_add_f32_e32 v76, v72, v76
	v_add_f32_e32 v103, v0, v54
	v_mul_f32_e32 v81, 0x3f763a35, v118
	v_fmamk_f32 v87, v104, 0x3f763a35, v83
	v_mul_f32_e32 v133, 0x3ee437d1, v122
	v_fma_f32 v77, 0xbf59a7d5, v101, -v82
	v_fmamk_f32 v79, v101, 0xbf7ba420, v73
	v_add_f32_e32 v75, v71, v75
	v_fmamk_f32 v80, v102, 0x3e3c28d5, v74
	v_add_f32_e32 v78, v72, v78
	v_fma_f32 v73, 0xbf7ba420, v101, -v73
	v_fmac_f32_e32 v74, 0xbe3c28d5, v102
	v_fma_f32 v84, 0xbe8c1d8e, v103, -v81
	v_mul_f32_e32 v86, 0x3f65296c, v118
	v_mul_f32_e32 v88, 0x3eb8f4ab, v118
	v_add_f32_e32 v76, v87, v76
	v_fmamk_f32 v87, v104, 0x3f65296c, v133
	v_mul_f32_e32 v106, 0x3f6eb680, v122
	v_add_f32_e32 v77, v71, v77
	v_add_f32_e32 v79, v71, v79
	;; [unrolled: 1-line block ×5, first 2 shown]
	v_fma_f32 v84, 0x3ee437d1, v103, -v86
	v_fmamk_f32 v105, v103, 0x3f6eb680, v88
	s_waitcnt lgkmcnt(3)
	v_sub_f32_e32 v119, v49, v58
	v_add_f32_e32 v78, v87, v78
	v_fmamk_f32 v87, v104, 0xbeb8f4ab, v106
	v_fma_f32 v88, 0x3f6eb680, v103, -v88
	v_fmac_f32_e32 v106, 0x3eb8f4ab, v104
	v_add_f32_e32 v124, v58, v49
	v_add_f32_e32 v80, v72, v80
	;; [unrolled: 1-line block ×5, first 2 shown]
	v_mul_f32_e32 v84, 0xbeb8f4ab, v119
	v_add_f32_e32 v73, v88, v73
	v_add_f32_e32 v74, v106, v74
	v_sub_f32_e32 v106, v48, v57
	v_mul_f32_e32 v88, 0x3f6eb680, v124
	v_add_f32_e32 v80, v87, v80
	v_fma_f32 v87, 0x3f6eb680, v105, -v84
	v_mul_f32_e32 v136, 0xbf7ee86f, v119
	v_mul_f32_e32 v138, 0x3dbcf732, v124
	v_fmamk_f32 v107, v106, 0xbeb8f4ab, v88
	v_mul_f32_e32 v109, 0xbf59a7d5, v124
	v_add_f32_e32 v75, v87, v75
	v_mul_f32_e32 v87, 0xbf06c442, v119
	v_fma_f32 v108, 0x3dbcf732, v105, -v136
	v_fmamk_f32 v110, v106, 0xbf7ee86f, v138
	v_add_f32_e32 v76, v107, v76
	v_fmamk_f32 v107, v106, 0x3f06c442, v109
	v_sub_f32_e32 v121, v51, v60
	v_add_f32_e32 v126, v60, v51
	v_fmamk_f32 v111, v105, 0xbf59a7d5, v87
	v_add_f32_e32 v77, v108, v77
	v_add_f32_e32 v78, v110, v78
	;; [unrolled: 1-line block ×3, first 2 shown]
	v_fma_f32 v110, 0xbf59a7d5, v105, -v87
	v_add_f32_e32 v107, v59, v50
	v_mul_f32_e32 v87, 0xbf06c442, v121
	v_fmac_f32_e32 v109, 0xbf06c442, v106
	v_sub_f32_e32 v108, v50, v59
	v_mul_f32_e32 v134, 0xbf59a7d5, v126
	v_add_f32_e32 v73, v110, v73
	v_fma_f32 v110, 0xbf59a7d5, v107, -v87
	v_add_f32_e32 v74, v109, v74
	v_mul_f32_e32 v137, 0x3f4c4adb, v121
	v_fmamk_f32 v109, v108, 0xbf06c442, v134
	v_mul_f32_e32 v141, 0xbf1a4643, v126
	v_add_f32_e32 v79, v111, v79
	v_add_f32_e32 v75, v110, v75
	v_mul_f32_e32 v110, 0x3f2c7751, v121
	v_fma_f32 v111, 0xbf1a4643, v107, -v137
	v_add_f32_e32 v76, v109, v76
	v_fmamk_f32 v109, v108, 0x3f4c4adb, v141
	v_mul_f32_e32 v112, 0x3f3d2fb0, v126
	s_waitcnt lgkmcnt(2)
	v_sub_f32_e32 v123, v41, v62
	v_fmamk_f32 v113, v107, 0x3f3d2fb0, v110
	v_add_f32_e32 v77, v111, v77
	v_add_f32_e32 v78, v109, v78
	v_fmamk_f32 v111, v108, 0xbf2c7751, v112
	v_add_f32_e32 v109, v61, v40
	v_mul_f32_e32 v135, 0x3f7ee86f, v123
	v_fma_f32 v110, 0x3f3d2fb0, v107, -v110
	v_add_f32_e32 v130, v62, v41
	v_add_f32_e32 v80, v111, v80
	v_fmac_f32_e32 v112, 0x3f2c7751, v108
	v_fma_f32 v111, 0x3dbcf732, v109, -v135
	v_add_f32_e32 v73, v110, v73
	v_sub_f32_e32 v110, v40, v61
	v_mul_f32_e32 v139, 0x3dbcf732, v130
	v_add_f32_e32 v74, v112, v74
	v_add_f32_e32 v75, v111, v75
	v_mul_f32_e32 v142, 0xbeb8f4ab, v123
	v_mul_f32_e32 v112, 0xbf4c4adb, v123
	v_fmamk_f32 v111, v110, 0x3f7ee86f, v139
	v_add_f32_e32 v79, v113, v79
	v_mul_f32_e32 v145, 0x3f6eb680, v130
	v_mul_f32_e32 v113, 0xbf1a4643, v130
	v_fma_f32 v114, 0x3f6eb680, v109, -v142
	v_add_f32_e32 v76, v111, v76
	v_fmamk_f32 v111, v109, 0xbf1a4643, v112
	v_sub_f32_e32 v125, v43, v33
	v_add_f32_e32 v128, v33, v43
	v_fmamk_f32 v115, v110, 0xbeb8f4ab, v145
	v_fmamk_f32 v116, v110, 0x3f4c4adb, v113
	v_add_f32_e32 v77, v114, v77
	v_add_f32_e32 v79, v111, v79
	;; [unrolled: 1-line block ×3, first 2 shown]
	v_mul_f32_e32 v140, 0xbf2c7751, v125
	v_fma_f32 v114, 0xbf1a4643, v109, -v112
	v_fmac_f32_e32 v113, 0xbf4c4adb, v110
	v_sub_f32_e32 v112, v42, v32
	v_mul_f32_e32 v143, 0x3f3d2fb0, v128
	v_add_f32_e32 v78, v115, v78
	v_fma_f32 v115, 0x3f3d2fb0, v111, -v140
	v_add_f32_e32 v74, v113, v74
	v_mul_f32_e32 v147, 0xbe3c28d5, v125
	v_fmamk_f32 v113, v112, 0xbf2c7751, v143
	v_mul_f32_e32 v151, 0xbf7ba420, v128
	v_add_f32_e32 v80, v116, v80
	v_add_f32_e32 v73, v114, v73
	;; [unrolled: 1-line block ×3, first 2 shown]
	v_mul_f32_e32 v114, 0x3f65296c, v125
	v_fma_f32 v115, 0xbf7ba420, v111, -v147
	v_add_f32_e32 v76, v113, v76
	v_mul_f32_e32 v116, 0x3ee437d1, v128
	v_fmamk_f32 v113, v112, 0xbe3c28d5, v151
	s_waitcnt lgkmcnt(0)
	v_sub_f32_e32 v127, v45, v39
	v_fmamk_f32 v129, v111, 0x3ee437d1, v114
	v_add_f32_e32 v77, v115, v77
	v_fmamk_f32 v115, v112, 0xbf65296c, v116
	v_add_f32_e32 v78, v113, v78
	v_add_f32_e32 v113, v38, v44
	v_mul_f32_e32 v144, 0xbe3c28d5, v127
	v_add_f32_e32 v131, v39, v45
	v_add_f32_e32 v79, v129, v79
	;; [unrolled: 1-line block ×3, first 2 shown]
	v_fma_f32 v115, 0x3ee437d1, v111, -v114
	v_fmac_f32_e32 v116, 0x3f65296c, v112
	v_fma_f32 v129, 0xbf7ba420, v113, -v144
	v_sub_f32_e32 v114, v44, v38
	v_mul_f32_e32 v146, 0xbf7ba420, v131
	v_mul_f32_e32 v150, 0x3f2c7751, v127
	v_add_f32_e32 v73, v115, v73
	v_add_f32_e32 v74, v116, v74
	;; [unrolled: 1-line block ×3, first 2 shown]
	v_fmamk_f32 v115, v114, 0xbe3c28d5, v146
	v_mul_f32_e32 v152, 0x3f3d2fb0, v131
	v_mul_f32_e32 v116, 0xbf763a35, v127
	;; [unrolled: 1-line block ×3, first 2 shown]
	v_fma_f32 v129, 0x3f3d2fb0, v113, -v150
	v_add_f32_e32 v76, v115, v76
	v_fmamk_f32 v115, v114, 0x3f2c7751, v152
	v_fmamk_f32 v132, v113, 0xbe8c1d8e, v116
	;; [unrolled: 1-line block ×3, first 2 shown]
	v_add_f32_e32 v77, v129, v77
	v_sub_f32_e32 v129, v47, v37
	v_add_f32_e32 v78, v115, v78
	v_add_f32_e32 v79, v132, v79
	;; [unrolled: 1-line block ×4, first 2 shown]
	v_mul_f32_e32 v148, 0x3f65296c, v129
	v_add_f32_e32 v132, v37, v47
	v_fma_f32 v155, 0xbe8c1d8e, v113, -v116
	v_fmac_f32_e32 v154, 0xbf763a35, v114
	v_sub_f32_e32 v116, v46, v36
	v_fma_f32 v156, 0x3ee437d1, v115, -v148
	v_mul_f32_e32 v149, 0x3ee437d1, v132
	v_mul_f32_e32 v153, 0xbf763a35, v129
	v_add_f32_e32 v155, v155, v73
	v_add_f32_e32 v157, v154, v74
	;; [unrolled: 1-line block ×3, first 2 shown]
	v_fmamk_f32 v73, v116, 0x3f65296c, v149
	v_fma_f32 v74, 0xbe8c1d8e, v115, -v153
	v_mul_f32_e32 v154, 0xbe8c1d8e, v132
	v_mul_f32_e32 v156, 0x3f7ee86f, v129
	;; [unrolled: 1-line block ×3, first 2 shown]
	v_add_f32_e32 v76, v73, v76
	v_add_f32_e32 v77, v74, v77
	v_fmamk_f32 v73, v116, 0xbf763a35, v154
	v_fmamk_f32 v74, v115, 0x3dbcf732, v156
	;; [unrolled: 1-line block ×3, first 2 shown]
	v_fma_f32 v156, 0x3dbcf732, v115, -v156
	v_fmac_f32_e32 v158, 0x3f7ee86f, v116
	v_add_f32_e32 v78, v73, v78
	v_add_f32_e32 v73, v74, v79
	;; [unrolled: 1-line block ×5, first 2 shown]
	s_barrier
	buffer_gl0_inv
	s_and_saveexec_b32 s1, vcc_lo
	s_cbranch_execz .LBB0_17
; %bb.16:
	v_mul_f32_e32 v158, 0xbf06c442, v102
	v_mul_f32_e32 v162, 0x3f65296c, v104
	v_mul_f32_e32 v166, 0xbf7ee86f, v106
	v_mul_f32_e32 v157, 0xbf59a7d5, v101
	v_mul_f32_e32 v170, 0x3f4c4adb, v108
	v_sub_f32_e32 v85, v85, v158
	v_sub_f32_e32 v133, v133, v162
	v_mul_f32_e32 v161, 0x3ee437d1, v103
	v_mul_f32_e32 v173, 0xbeb8f4ab, v110
	v_add_f32_e32 v82, v157, v82
	v_add_f32_e32 v85, v72, v85
	v_mul_f32_e32 v156, 0xbf4c4adb, v102
	v_mul_f32_e32 v165, 0x3dbcf732, v105
	;; [unrolled: 1-line block ×3, first 2 shown]
	v_add_f32_e32 v82, v71, v82
	v_add_f32_e32 v85, v133, v85
	v_sub_f32_e32 v133, v138, v166
	v_add_f32_e32 v86, v161, v86
	v_mul_f32_e32 v160, 0x3f763a35, v104
	v_mul_f32_e32 v169, 0xbf1a4643, v107
	v_sub_f32_e32 v35, v35, v156
	v_add_f32_e32 v85, v133, v85
	v_sub_f32_e32 v133, v141, v170
	v_mul_f32_e32 v141, 0x3f2c7751, v114
	v_add_f32_e32 v82, v86, v82
	v_add_f32_e32 v86, v165, v136
	v_mul_f32_e32 v164, 0xbeb8f4ab, v106
	v_add_f32_e32 v85, v133, v85
	v_sub_f32_e32 v133, v145, v173
	v_mul_f32_e32 v172, 0x3f6eb680, v109
	v_mul_f32_e32 v136, 0xbf763a35, v116
	v_add_f32_e32 v82, v86, v82
	v_add_f32_e32 v86, v169, v137
	;; [unrolled: 1-line block ×3, first 2 shown]
	v_sub_f32_e32 v133, v151, v176
	v_add_f32_e32 v35, v72, v35
	v_sub_f32_e32 v83, v83, v160
	v_mul_f32_e32 v155, 0xbf1a4643, v101
	v_mul_f32_e32 v168, 0xbf06c442, v108
	v_add_f32_e32 v85, v133, v85
	v_sub_f32_e32 v133, v152, v141
	v_mul_f32_e32 v175, 0xbf7ba420, v111
	v_add_f32_e32 v82, v86, v82
	v_add_f32_e32 v86, v172, v142
	;; [unrolled: 1-line block ×4, first 2 shown]
	v_sub_f32_e32 v133, v154, v136
	v_sub_f32_e32 v88, v88, v164
	v_mul_f32_e32 v159, 0xbe8c1d8e, v103
	v_mul_f32_e32 v171, 0x3f7ee86f, v110
	;; [unrolled: 1-line block ×3, first 2 shown]
	v_add_f32_e32 v82, v86, v82
	v_add_f32_e32 v86, v175, v147
	;; [unrolled: 1-line block ×5, first 2 shown]
	v_sub_f32_e32 v85, v134, v168
	v_mul_f32_e32 v163, 0x3f6eb680, v105
	v_mul_f32_e32 v174, 0xbf2c7751, v112
	;; [unrolled: 1-line block ×3, first 2 shown]
	v_add_f32_e32 v82, v86, v82
	v_add_f32_e32 v86, v177, v150
	;; [unrolled: 1-line block ×5, first 2 shown]
	v_sub_f32_e32 v85, v139, v171
	v_mul_f32_e32 v167, 0xbf59a7d5, v107
	v_mul_f32_e32 v166, 0xbe3c28d5, v114
	v_add_f32_e32 v82, v86, v82
	v_add_f32_e32 v86, v161, v153
	v_add_f32_e32 v81, v81, v34
	v_add_f32_e32 v84, v163, v84
	v_add_f32_e32 v83, v85, v83
	v_sub_f32_e32 v85, v143, v174
	v_mul_f32_e32 v136, 0xbe8c1d8e, v120
	v_mul_f32_e32 v158, 0x3dbcf732, v109
	v_add_f32_e32 v34, v86, v82
	v_add_f32_e32 v81, v84, v81
	;; [unrolled: 1-line block ×4, first 2 shown]
	v_sub_f32_e32 v84, v146, v166
	v_fmamk_f32 v85, v102, 0x3f763a35, v136
	v_mul_f32_e32 v137, 0xbf59a7d5, v122
	v_mul_f32_e32 v162, 0x3f3d2fb0, v111
	;; [unrolled: 1-line block ×3, first 2 shown]
	v_add_f32_e32 v81, v82, v81
	v_add_f32_e32 v82, v158, v135
	v_add_f32_e32 v83, v84, v83
	v_add_f32_e32 v84, v72, v85
	v_fmamk_f32 v85, v104, 0xbf06c442, v137
	v_mul_f32_e32 v135, 0x3f3d2fb0, v124
	v_mul_f32_e32 v138, 0xbf7ba420, v113
	v_add_f32_e32 v81, v82, v81
	v_add_f32_e32 v82, v162, v140
	v_sub_f32_e32 v86, v149, v145
	v_add_f32_e32 v84, v85, v84
	v_fmamk_f32 v85, v106, 0xbf2c7751, v135
	v_mul_f32_e32 v139, 0x3ee437d1, v126
	v_mul_f32_e32 v157, 0x3ee437d1, v115
	v_add_f32_e32 v81, v82, v81
	v_add_f32_e32 v87, v138, v144
	;; [unrolled: 1-line block ×4, first 2 shown]
	v_fmamk_f32 v84, v108, 0x3f65296c, v139
	v_mul_f32_e32 v138, 0xbf7ba420, v130
	v_add_f32_e32 v81, v87, v81
	v_add_f32_e32 v85, v157, v148
	v_mul_f32_e32 v140, 0xbf763a35, v117
	v_add_f32_e32 v83, v84, v83
	v_fmamk_f32 v84, v110, 0x3e3c28d5, v138
	v_mul_f32_e32 v141, 0x3dbcf732, v128
	v_add_f32_e32 v81, v85, v81
	v_fmamk_f32 v85, v101, 0xbe8c1d8e, v140
	;; [unrolled: 3-line block ×49, first 2 shown]
	v_mul_f32_e32 v195, 0x3f6eb680, v132
	v_add_f32_e32 v87, v134, v133
	v_mul_f32_e32 v120, 0x3f6eb680, v120
	v_mul_f32_e32 v122, 0x3f3d2fb0, v122
	v_add_f32_e32 v134, v190, v183
	v_fmamk_f32 v183, v112, 0xbf763a35, v191
	v_mul_f32_e32 v190, 0x3ee437d1, v131
	v_mul_f32_e32 v124, 0x3ee437d1, v124
	v_fmamk_f32 v199, v104, 0x3f2c7751, v122
	v_add_f32_e32 v53, v53, v72
	v_add_f32_e32 v134, v183, v134
	v_fmamk_f32 v183, v114, 0xbf65296c, v190
	v_mul_f32_e32 v126, 0x3dbcf732, v126
	v_add_f32_e32 v52, v52, v71
	v_add_f32_e32 v53, v55, v53
	v_mul_f32_e32 v130, 0xbe8c1d8e, v130
	v_add_f32_e32 v134, v183, v134
	v_fmamk_f32 v183, v116, 0xbeb8f4ab, v195
	v_add_f32_e32 v52, v54, v52
	v_add_f32_e32 v49, v49, v53
	v_mul_f32_e32 v55, 0xbf1a4643, v128
	v_mul_f32_e32 v189, 0xbf2c7751, v117
	v_add_f32_e32 v134, v183, v134
	v_fmamk_f32 v183, v102, 0x3eb8f4ab, v120
	v_add_f32_e32 v49, v51, v49
	v_add_f32_e32 v48, v48, v52
	v_fmamk_f32 v53, v112, 0x3f4c4adb, v55
	v_mul_f32_e32 v54, 0xbf59a7d5, v131
	v_add_f32_e32 v183, v72, v183
	v_mul_f32_e32 v117, 0xbeb8f4ab, v117
	v_add_f32_e32 v41, v41, v49
	v_add_f32_e32 v48, v50, v48
	v_fmamk_f32 v52, v114, 0x3f06c442, v54
	v_add_f32_e32 v183, v199, v183
	v_fmamk_f32 v199, v106, 0x3f65296c, v124
	v_mul_f32_e32 v49, 0xbf2c7751, v118
	v_add_f32_e32 v41, v43, v41
	v_add_f32_e32 v40, v40, v48
	v_mul_f32_e32 v48, 0xbf65296c, v119
	v_add_f32_e32 v183, v199, v183
	v_fmamk_f32 v199, v108, 0x3f7ee86f, v126
	v_fmamk_f32 v43, v103, 0x3f3d2fb0, v49
	v_add_f32_e32 v41, v45, v41
	v_add_f32_e32 v40, v42, v40
	v_mul_f32_e32 v45, 0xbf7ee86f, v121
	v_add_f32_e32 v183, v199, v183
	v_fmamk_f32 v199, v110, 0x3f763a35, v130
	v_add_f32_e32 v41, v47, v41
	v_add_f32_e32 v40, v44, v40
	v_fmac_f32_e32 v136, 0xbf763a35, v102
	v_fmac_f32_e32 v137, 0x3f06c442, v104
	v_add_f32_e32 v128, v199, v183
	v_add_f32_e32 v41, v37, v41
	v_add_f32_e32 v40, v46, v40
	v_fmac_f32_e32 v135, 0x3f2c7751, v106
	v_fmac_f32_e32 v139, 0xbf65296c, v108
	v_add_f32_e32 v51, v53, v128
	v_fmamk_f32 v53, v101, 0x3f6eb680, v117
	v_add_f32_e32 v39, v39, v41
	v_add_f32_e32 v36, v36, v40
	v_mul_f32_e32 v41, 0xbf4c4adb, v125
	v_add_f32_e32 v50, v52, v51
	v_add_f32_e32 v51, v71, v53
	v_mul_f32_e32 v52, 0xbf7ba420, v132
	v_add_f32_e32 v33, v33, v39
	v_add_f32_e32 v36, v38, v36
	v_add_f32_e32 v38, v72, v136
	v_add_f32_e32 v42, v43, v51
	v_fmamk_f32 v43, v105, 0x3ee437d1, v48
	v_fmamk_f32 v44, v116, 0x3e3c28d5, v52
	v_add_f32_e32 v33, v62, v33
	v_add_f32_e32 v32, v32, v36
	;; [unrolled: 1-line block ×4, first 2 shown]
	v_fmamk_f32 v43, v107, 0x3dbcf732, v45
	v_add_f32_e32 v37, v44, v50
	v_mul_f32_e32 v44, 0xbf763a35, v123
	v_add_f32_e32 v33, v60, v33
	v_add_f32_e32 v32, v61, v32
	;; [unrolled: 1-line block ×4, first 2 shown]
	v_fmamk_f32 v40, v109, 0xbe8c1d8e, v44
	v_add_f32_e32 v33, v58, v33
	v_add_f32_e32 v32, v59, v32
	v_fmac_f32_e32 v138, 0xbe3c28d5, v110
	v_add_f32_e32 v36, v139, v36
	v_add_f32_e32 v39, v40, v42
	v_fmamk_f32 v40, v111, 0xbf1a4643, v41
	v_mul_f32_e32 v42, 0xbe3c28d5, v129
	v_add_f32_e32 v1, v1, v33
	v_add_f32_e32 v32, v57, v32
	;; [unrolled: 1-line block ×4, first 2 shown]
	v_mul_f32_e32 v40, 0xbf06c442, v127
	v_fmac_f32_e32 v141, 0x3f7ee86f, v112
	v_add_f32_e32 v1, v3, v1
	v_add_f32_e32 v0, v0, v32
	v_fmac_f32_e32 v143, 0xbeb8f4ab, v114
	v_fmamk_f32 v39, v113, 0xbf59a7d5, v40
	v_add_f32_e32 v3, v141, v33
	v_fma_f32 v33, 0xbf59a7d5, v103, -v142
	v_fmac_f32_e32 v147, 0xbf7ee86f, v102
	v_add_f32_e32 v0, v2, v0
	v_add_f32_e32 v38, v39, v38
	v_fmamk_f32 v39, v115, 0xbf7ba420, v42
	v_add_f32_e32 v2, v143, v3
	v_fmac_f32_e32 v145, 0xbf4c4adb, v116
	v_fmac_f32_e32 v149, 0xbe3c28d5, v104
	;; [unrolled: 1-line block ×3, first 2 shown]
	v_add_f32_e32 v36, v39, v38
	v_fma_f32 v38, 0xbe8c1d8e, v101, -v140
	v_add_f32_e32 v3, v145, v2
	v_fma_f32 v2, 0x3dbcf732, v101, -v156
	v_fma_f32 v39, 0xbf7ba420, v103, -v158
	v_fmac_f32_e32 v153, 0x3eb8f4ab, v108
	v_add_f32_e32 v32, v71, v38
	v_add_f32_e32 v38, v72, v147
	;; [unrolled: 1-line block ×3, first 2 shown]
	v_fmac_f32_e32 v155, 0xbf65296c, v110
	v_fmac_f32_e32 v157, 0xbf06c442, v112
	v_add_f32_e32 v32, v33, v32
	v_fma_f32 v33, 0x3f3d2fb0, v105, -v144
	v_add_f32_e32 v38, v149, v38
	v_add_f32_e32 v2, v39, v2
	v_fma_f32 v39, 0xbe8c1d8e, v105, -v160
	v_fmac_f32_e32 v159, 0x3f4c4adb, v114
	v_add_f32_e32 v32, v33, v32
	v_fma_f32 v33, 0x3ee437d1, v107, -v146
	v_add_f32_e32 v38, v151, v38
	v_add_f32_e32 v2, v39, v2
	v_fma_f32 v39, 0x3f6eb680, v107, -v162
	v_fma_f32 v43, 0xbf59a7d5, v111, -v166
	v_add_f32_e32 v32, v33, v32
	v_fma_f32 v33, 0xbf7ba420, v109, -v148
	v_add_f32_e32 v38, v153, v38
	v_add_f32_e32 v2, v39, v2
	v_fma_f32 v39, 0x3ee437d1, v109, -v164
	v_fmac_f32_e32 v163, 0xbf65296c, v102
	v_add_f32_e32 v32, v33, v32
	v_fma_f32 v33, 0x3dbcf732, v111, -v150
	v_add_f32_e32 v38, v155, v38
	v_add_f32_e32 v39, v39, v2
	v_fmac_f32_e32 v161, 0x3f2c7751, v116
	v_fmac_f32_e32 v165, 0xbf4c4adb, v104
	v_add_f32_e32 v32, v33, v32
	v_fma_f32 v33, 0x3f6eb680, v113, -v152
	v_add_f32_e32 v38, v157, v38
	v_fmac_f32_e32 v167, 0x3e3c28d5, v106
	v_fma_f32 v47, 0xbf1a4643, v103, -v174
	v_fmac_f32_e32 v179, 0xbf2c7751, v102
	v_add_f32_e32 v32, v33, v32
	v_fma_f32 v33, 0xbf1a4643, v115, -v154
	v_fmac_f32_e32 v169, 0x3f763a35, v108
	v_fmac_f32_e32 v182, 0xbf7ee86f, v104
	v_fmac_f32_e32 v171, 0x3f2c7751, v110
	v_fmac_f32_e32 v184, 0xbf4c4adb, v106
	v_add_f32_e32 v2, v33, v32
	v_add_f32_e32 v32, v159, v38
	;; [unrolled: 1-line block ×3, first 2 shown]
	v_fma_f32 v39, 0xbf1a4643, v113, -v168
	v_add_f32_e32 v43, v72, v163
	v_fmac_f32_e32 v173, 0xbeb8f4ab, v112
	v_add_f32_e32 v33, v161, v32
	v_fma_f32 v32, 0x3ee437d1, v101, -v172
	v_add_f32_e32 v38, v39, v38
	v_fma_f32 v39, 0x3f3d2fb0, v115, -v170
	v_add_f32_e32 v43, v165, v43
	v_fmac_f32_e32 v186, 0xbe3c28d5, v108
	v_add_f32_e32 v46, v71, v32
	v_fmac_f32_e32 v175, 0xbf7ee86f, v114
	v_add_f32_e32 v32, v39, v38
	v_add_f32_e32 v38, v167, v43
	v_fma_f32 v43, 0xbf7ba420, v105, -v176
	v_add_f32_e32 v39, v47, v46
	v_add_f32_e32 v46, v72, v179
	v_fmac_f32_e32 v188, 0x3f06c442, v110
	v_add_f32_e32 v38, v169, v38
	v_fmac_f32_e32 v177, 0xbf06c442, v116
	v_add_f32_e32 v39, v43, v39
	v_fma_f32 v43, 0xbe8c1d8e, v107, -v178
	v_add_f32_e32 v46, v182, v46
	v_add_f32_e32 v38, v171, v38
	v_fma_f32 v47, 0x3dbcf732, v113, -v185
	v_fmac_f32_e32 v191, 0x3f763a35, v112
	v_add_f32_e32 v39, v43, v39
	v_fma_f32 v43, 0x3f3d2fb0, v109, -v181
	v_add_f32_e32 v46, v184, v46
	v_add_f32_e32 v38, v173, v38
	v_mul_f32_e32 v192, 0xbf7ee86f, v118
	v_fmac_f32_e32 v190, 0x3f65296c, v114
	v_add_f32_e32 v39, v43, v39
	v_fma_f32 v43, 0x3f6eb680, v111, -v180
	v_add_f32_e32 v46, v186, v46
	v_add_f32_e32 v38, v175, v38
	v_fmamk_f32 v133, v101, 0x3f3d2fb0, v189
	v_mul_f32_e32 v194, 0xbf4c4adb, v119
	v_add_f32_e32 v43, v43, v39
	v_add_f32_e32 v46, v188, v46
	;; [unrolled: 1-line block ×3, first 2 shown]
	v_fma_f32 v38, 0x3f3d2fb0, v101, -v189
	v_fma_f32 v51, 0x3dbcf732, v103, -v192
	v_add_f32_e32 v43, v47, v43
	v_fma_f32 v47, 0xbf59a7d5, v115, -v187
	v_add_f32_e32 v46, v191, v46
	v_add_f32_e32 v50, v71, v38
	v_fmac_f32_e32 v120, 0xbeb8f4ab, v102
	v_add_f32_e32 v133, v71, v133
	v_add_f32_e32 v38, v47, v43
	;; [unrolled: 1-line block ×3, first 2 shown]
	v_fma_f32 v46, 0x3f6eb680, v101, -v117
	v_fmamk_f32 v193, v103, 0x3dbcf732, v192
	v_mul_f32_e32 v196, 0xbe3c28d5, v121
	v_add_f32_e32 v47, v51, v50
	v_fma_f32 v50, 0xbf1a4643, v105, -v194
	v_add_f32_e32 v51, v72, v120
	v_fmac_f32_e32 v122, 0xbf2c7751, v104
	v_add_f32_e32 v46, v71, v46
	v_fma_f32 v49, 0x3f3d2fb0, v103, -v49
	v_add_f32_e32 v133, v193, v133
	v_fmamk_f32 v193, v105, 0xbf1a4643, v194
	v_mul_f32_e32 v197, 0x3f06c442, v123
	v_add_f32_e32 v47, v50, v47
	v_fma_f32 v50, 0xbf7ba420, v107, -v196
	v_add_f32_e32 v51, v122, v51
	v_fmac_f32_e32 v124, 0xbf65296c, v106
	v_add_f32_e32 v46, v49, v46
	v_fma_f32 v48, 0x3ee437d1, v105, -v48
	v_add_f32_e32 v133, v193, v133
	;; [unrolled: 9-line block ×4, first 2 shown]
	v_fmamk_f32 v193, v111, 0xbe8c1d8e, v198
	v_add_f32_e32 v46, v48, v47
	v_fma_f32 v47, 0x3ee437d1, v113, -v200
	v_add_f32_e32 v48, v130, v49
	v_fmac_f32_e32 v55, 0xbf4c4adb, v112
	v_add_f32_e32 v44, v44, v45
	v_fma_f32 v41, 0xbf1a4643, v111, -v41
	v_add_f32_e32 v133, v193, v133
	v_fmamk_f32 v193, v113, 0x3ee437d1, v200
	v_mul_f32_e32 v201, 0x3eb8f4ab, v129
	v_add_f32_e32 v45, v47, v46
	v_add_f32_e32 v46, v55, v48
	v_fmac_f32_e32 v54, 0xbf06c442, v114
	v_add_f32_e32 v41, v41, v44
	v_fma_f32 v40, 0xbf59a7d5, v113, -v40
	v_and_b32_e32 v47, 0xffff, v94
	v_add_f32_e32 v133, v193, v133
	v_fmamk_f32 v193, v115, 0x3f6eb680, v201
	v_fmac_f32_e32 v195, 0x3eb8f4ab, v116
	v_fma_f32 v44, 0x3f6eb680, v115, -v201
	v_add_f32_e32 v46, v54, v46
	v_fmac_f32_e32 v52, 0xbe3c28d5, v116
	v_add_f32_e32 v48, v40, v41
	v_fma_f32 v42, 0xbf7ba420, v115, -v42
	v_lshl_add_u32 v47, v47, 3, v93
	v_add_f32_e32 v133, v193, v133
	v_add_f32_e32 v41, v195, v43
	;; [unrolled: 1-line block ×5, first 2 shown]
	ds_write2_b64 v47, v[0:1], v[36:37] offset1:1
	ds_write2_b64 v47, v[133:134], v[87:88] offset0:2 offset1:3
	ds_write2_b64 v47, v[85:86], v[83:84] offset0:4 offset1:5
	ds_write2_b64 v47, v[81:82], v[34:35] offset0:6 offset1:7
	ds_write2_b64 v47, v[73:74], v[79:80] offset0:8 offset1:9
	ds_write2_b64 v47, v[77:78], v[75:76] offset0:10 offset1:11
	ds_write2_b64 v47, v[2:3], v[32:33] offset0:12 offset1:13
	ds_write2_b64 v47, v[38:39], v[40:41] offset0:14 offset1:15
	ds_write_b64 v47, v[42:43] offset:128
.LBB0_17:
	s_or_b32 exec_lo, exec_lo, s1
	v_add_nc_u32_e32 v32, 0x800, v96
	v_add_nc_u32_e32 v33, 0xc00, v96
	s_waitcnt lgkmcnt(0)
	s_barrier
	buffer_gl0_inv
	ds_read2_b64 v[0:3], v96 offset1:68
	ds_read2_b64 v[40:43], v96 offset0:170 offset1:238
	ds_read2_b64 v[36:39], v32 offset0:84 offset1:152
	;; [unrolled: 1-line block ×3, first 2 shown]
	s_and_saveexec_b32 s1, s0
	s_cbranch_execz .LBB0_19
; %bb.18:
	ds_read_b64 v[73:74], v96 offset:1088
	ds_read_b64 v[79:80], v96 offset:2448
	;; [unrolled: 1-line block ×4, first 2 shown]
.LBB0_19:
	s_or_b32 exec_lo, exec_lo, s1
	s_waitcnt lgkmcnt(2)
	v_mul_f32_e32 v44, v17, v41
	v_mul_f32_e32 v17, v17, v40
	s_waitcnt lgkmcnt(1)
	v_mul_f32_e32 v45, v19, v37
	v_mul_f32_e32 v19, v19, v36
	s_waitcnt lgkmcnt(0)
	v_fmac_f32_e32 v44, v16, v40
	v_fma_f32 v16, v16, v41, -v17
	v_fmac_f32_e32 v45, v18, v36
	v_mul_f32_e32 v17, v68, v33
	v_fma_f32 v18, v18, v37, -v19
	v_mul_f32_e32 v19, v68, v32
	v_mul_f32_e32 v36, v9, v43
	;; [unrolled: 1-line block ×3, first 2 shown]
	v_fmac_f32_e32 v17, v67, v32
	v_mul_f32_e32 v32, v11, v39
	v_fma_f32 v19, v67, v33, -v19
	v_fmac_f32_e32 v36, v8, v42
	v_fma_f32 v9, v8, v43, -v9
	v_mul_f32_e32 v8, v11, v38
	v_fmac_f32_e32 v32, v10, v38
	v_sub_f32_e32 v37, v1, v18
	v_sub_f32_e32 v18, v16, v19
	v_mul_f32_e32 v19, v66, v35
	v_mul_f32_e32 v38, v66, v34
	v_sub_f32_e32 v33, v0, v45
	v_sub_f32_e32 v17, v44, v17
	v_fma_f32 v40, v1, 2.0, -v37
	v_fma_f32 v1, v16, 2.0, -v18
	v_fma_f32 v10, v10, v39, -v8
	v_fmac_f32_e32 v19, v65, v34
	v_fma_f32 v16, v65, v35, -v38
	v_fma_f32 v11, v0, 2.0, -v33
	v_fma_f32 v0, v44, 2.0, -v17
	v_sub_f32_e32 v34, v2, v32
	v_sub_f32_e32 v35, v3, v10
	;; [unrolled: 1-line block ×5, first 2 shown]
	v_add_f32_e32 v10, v33, v18
	v_fma_f32 v38, v2, 2.0, -v34
	v_fma_f32 v39, v3, 2.0, -v35
	;; [unrolled: 1-line block ×4, first 2 shown]
	v_sub_f32_e32 v1, v40, v1
	v_fma_f32 v8, v11, 2.0, -v0
	v_sub_f32_e32 v11, v37, v17
	v_sub_f32_e32 v16, v38, v3
	;; [unrolled: 1-line block ×3, first 2 shown]
	v_add_f32_e32 v18, v34, v32
	v_sub_f32_e32 v19, v35, v19
	v_fma_f32 v9, v40, 2.0, -v1
	v_fma_f32 v2, v33, 2.0, -v10
	;; [unrolled: 1-line block ×7, first 2 shown]
	s_barrier
	buffer_gl0_inv
	ds_write2_b64 v100, v[8:9], v[2:3] offset1:17
	ds_write2_b64 v100, v[0:1], v[10:11] offset0:34 offset1:51
	ds_write2_b64 v99, v[32:33], v[34:35] offset1:17
	ds_write2_b64 v99, v[16:17], v[18:19] offset0:34 offset1:51
	s_and_saveexec_b32 s1, s0
	s_cbranch_execz .LBB0_21
; %bb.20:
	v_mul_f32_e32 v0, v7, v77
	v_mul_f32_e32 v1, v5, v80
	v_mul_f32_e32 v2, v7, v78
	v_mul_f32_e32 v3, v5, v79
	v_mul_f32_e32 v5, v64, v75
	v_mul_f32_e32 v7, v64, v76
	v_fma_f32 v0, v6, v78, -v0
	v_fmac_f32_e32 v1, v4, v79
	v_fma_f32 v3, v4, v80, -v3
	v_fma_f32 v4, v63, v76, -v5
	v_fmac_f32_e32 v2, v6, v77
	v_fmac_f32_e32 v7, v63, v75
	v_sub_f32_e32 v5, v74, v0
	v_mov_b32_e32 v6, 0x44
	v_sub_f32_e32 v0, v3, v4
	v_sub_f32_e32 v4, v73, v2
	;; [unrolled: 1-line block ×3, first 2 shown]
	v_fma_f32 v7, v74, 2.0, -v5
	v_mul_u32_u24_sdwa v6, v97, v6 dst_sel:DWORD dst_unused:UNUSED_PAD src0_sel:WORD_0 src1_sel:DWORD
	v_fma_f32 v3, v3, 2.0, -v0
	v_fma_f32 v8, v73, 2.0, -v4
	;; [unrolled: 1-line block ×3, first 2 shown]
	v_sub_f32_e32 v1, v5, v2
	v_add_f32_e32 v0, v4, v0
	v_sub_f32_e32 v3, v7, v3
	v_sub_f32_e32 v2, v8, v9
	v_add_nc_u32_e32 v9, v6, v98
	v_fma_f32 v5, v5, 2.0, -v1
	v_fma_f32 v4, v4, 2.0, -v0
	v_fma_f32 v7, v7, 2.0, -v3
	v_fma_f32 v6, v8, 2.0, -v2
	v_lshl_add_u32 v8, v9, 3, v93
	ds_write2_b64 v8, v[6:7], v[4:5] offset1:17
	ds_write2_b64 v8, v[2:3], v[0:1] offset0:34 offset1:51
.LBB0_21:
	s_or_b32 exec_lo, exec_lo, s1
	s_waitcnt lgkmcnt(0)
	s_barrier
	buffer_gl0_inv
	ds_read2_b64 v[0:3], v96 offset1:68
	ds_read2_b64 v[4:7], v96 offset0:136 offset1:204
	v_add_nc_u32_e32 v16, 0x800, v96
	v_add_nc_u32_e32 v32, 0x1000, v96
	ds_read2_b64 v[8:11], v16 offset0:16 offset1:220
	ds_read2_b64 v[16:19], v16 offset0:84 offset1:152
	;; [unrolled: 1-line block ×3, first 2 shown]
	s_waitcnt lgkmcnt(4)
	v_mul_f32_e32 v36, v29, v3
	v_mul_f32_e32 v29, v29, v2
	s_waitcnt lgkmcnt(3)
	v_mul_f32_e32 v37, v31, v5
	v_mul_f32_e32 v31, v31, v4
	;; [unrolled: 1-line block ×4, first 2 shown]
	v_fmac_f32_e32 v36, v28, v2
	v_fma_f32 v2, v28, v3, -v29
	v_fmac_f32_e32 v37, v30, v4
	v_fma_f32 v3, v30, v5, -v31
	;; [unrolled: 2-line block ×3, first 2 shown]
	s_waitcnt lgkmcnt(2)
	v_mul_f32_e32 v5, v27, v9
	s_waitcnt lgkmcnt(1)
	v_mul_f32_e32 v7, v21, v17
	v_mul_f32_e32 v24, v23, v19
	;; [unrolled: 1-line block ×4, first 2 shown]
	v_fmac_f32_e32 v5, v26, v8
	v_fmac_f32_e32 v7, v20, v16
	v_mul_f32_e32 v8, v13, v11
	v_fmac_f32_e32 v24, v22, v18
	s_waitcnt lgkmcnt(0)
	v_mul_f32_e32 v16, v15, v32
	v_mul_f32_e32 v15, v15, v33
	;; [unrolled: 1-line block ×3, first 2 shown]
	v_fmac_f32_e32 v8, v12, v10
	v_mul_f32_e32 v10, v13, v10
	v_add_f32_e32 v13, v5, v24
	v_fma_f32 v16, v14, v33, -v16
	v_fmac_f32_e32 v15, v14, v32
	v_fma_f32 v6, v26, v9, -v6
	v_fma_f32 v9, v20, v17, -v21
	;; [unrolled: 1-line block ×3, first 2 shown]
	v_add_f32_e32 v19, v0, v37
	v_fma_f32 v20, -0.5, v13, v0
	v_sub_f32_e32 v13, v3, v16
	v_add_f32_e32 v22, v37, v15
	v_fma_f32 v10, v12, v11, -v10
	v_add_f32_e32 v11, v19, v5
	v_sub_f32_e32 v14, v6, v17
	v_fmamk_f32 v12, v13, 0xbf737871, v20
	v_sub_f32_e32 v19, v37, v5
	v_sub_f32_e32 v21, v15, v24
	v_mul_f32_e32 v23, v70, v34
	v_fma_f32 v0, -0.5, v22, v0
	v_fmac_f32_e32 v20, 0x3f737871, v13
	v_add_f32_e32 v26, v1, v3
	v_add_f32_e32 v11, v11, v24
	v_fmac_f32_e32 v12, 0xbf167918, v14
	v_add_f32_e32 v19, v19, v21
	v_fma_f32 v21, v69, v35, -v23
	v_fmamk_f32 v22, v14, 0x3f737871, v0
	v_sub_f32_e32 v23, v5, v37
	v_sub_f32_e32 v25, v24, v15
	v_fmac_f32_e32 v20, 0x3f167918, v14
	v_add_f32_e32 v27, v6, v17
	v_fmac_f32_e32 v0, 0xbf737871, v14
	v_add_f32_e32 v14, v26, v6
	v_add_f32_e32 v11, v11, v15
	v_fmac_f32_e32 v12, 0x3e9e377a, v19
	v_fmac_f32_e32 v22, 0xbf167918, v13
	v_add_f32_e32 v23, v23, v25
	v_fma_f32 v25, -0.5, v27, v1
	v_sub_f32_e32 v15, v37, v15
	v_fmac_f32_e32 v20, 0x3e9e377a, v19
	v_fmac_f32_e32 v0, 0x3f167918, v13
	v_add_f32_e32 v13, v14, v17
	v_add_f32_e32 v19, v3, v16
	v_mul_f32_e32 v18, v70, v35
	v_fmac_f32_e32 v22, 0x3e9e377a, v23
	v_fmamk_f32 v14, v15, 0x3f737871, v25
	v_sub_f32_e32 v5, v5, v24
	v_sub_f32_e32 v24, v3, v6
	;; [unrolled: 1-line block ×3, first 2 shown]
	v_fmac_f32_e32 v0, 0x3e9e377a, v23
	v_fma_f32 v23, -0.5, v19, v1
	v_add_f32_e32 v27, v13, v16
	v_fmac_f32_e32 v25, 0xbf737871, v15
	v_sub_f32_e32 v3, v6, v3
	v_sub_f32_e32 v6, v17, v16
	v_add_f32_e32 v13, v36, v38
	v_fmac_f32_e32 v18, v69, v34
	v_fmac_f32_e32 v14, 0x3f167918, v5
	v_add_f32_e32 v1, v24, v26
	v_fmamk_f32 v24, v5, 0xbf737871, v23
	v_fmac_f32_e32 v25, 0xbf167918, v5
	v_add_f32_e32 v3, v3, v6
	v_fmac_f32_e32 v23, 0x3f737871, v5
	v_add_f32_e32 v5, v13, v7
	v_add_f32_e32 v6, v7, v8
	v_fmac_f32_e32 v14, 0x3e9e377a, v1
	v_fmac_f32_e32 v24, 0x3f167918, v15
	;; [unrolled: 1-line block ×4, first 2 shown]
	v_add_f32_e32 v1, v5, v8
	v_fma_f32 v6, -0.5, v6, v36
	v_add_f32_e32 v5, v38, v18
	v_sub_f32_e32 v13, v4, v21
	v_fmac_f32_e32 v24, 0x3e9e377a, v3
	v_fmac_f32_e32 v23, 0x3e9e377a, v3
	v_add_f32_e32 v15, v1, v18
	v_sub_f32_e32 v1, v9, v10
	v_fmac_f32_e32 v36, -0.5, v5
	v_fmamk_f32 v16, v13, 0xbf737871, v6
	v_sub_f32_e32 v3, v38, v7
	v_sub_f32_e32 v5, v18, v8
	v_fmac_f32_e32 v6, 0x3f737871, v13
	v_fmamk_f32 v17, v1, 0x3f737871, v36
	v_fmac_f32_e32 v16, 0xbf167918, v1
	v_fmac_f32_e32 v36, 0xbf737871, v1
	v_add_f32_e32 v3, v3, v5
	v_fmac_f32_e32 v6, 0x3f167918, v1
	v_add_f32_e32 v1, v9, v10
	v_sub_f32_e32 v19, v7, v38
	v_sub_f32_e32 v26, v8, v18
	v_fmac_f32_e32 v16, 0x3e9e377a, v3
	v_fmac_f32_e32 v6, 0x3e9e377a, v3
	v_add_f32_e32 v3, v4, v21
	v_fmac_f32_e32 v17, 0xbf167918, v13
	v_fmac_f32_e32 v36, 0x3f167918, v13
	v_fma_f32 v13, -0.5, v1, v2
	v_sub_f32_e32 v1, v38, v18
	v_add_f32_e32 v18, v2, v4
	v_sub_f32_e32 v7, v7, v8
	v_fmac_f32_e32 v2, -0.5, v3
	v_add_f32_e32 v5, v19, v26
	v_sub_f32_e32 v3, v4, v9
	v_sub_f32_e32 v4, v9, v4
	;; [unrolled: 1-line block ×3, first 2 shown]
	v_fmamk_f32 v19, v7, 0xbf737871, v2
	v_fmac_f32_e32 v2, 0x3f737871, v7
	v_fmac_f32_e32 v17, 0x3e9e377a, v5
	v_fmac_f32_e32 v36, 0x3e9e377a, v5
	v_fmamk_f32 v8, v1, 0x3f737871, v13
	v_sub_f32_e32 v5, v21, v10
	v_fmac_f32_e32 v13, 0xbf737871, v1
	v_add_f32_e32 v4, v4, v26
	v_fmac_f32_e32 v2, 0xbf167918, v1
	v_fmac_f32_e32 v8, 0x3f167918, v7
	v_add_f32_e32 v3, v3, v5
	v_fmac_f32_e32 v19, 0x3f167918, v1
	;; [unrolled: 3-line block ×3, first 2 shown]
	v_fmac_f32_e32 v8, 0x3e9e377a, v3
	v_fmac_f32_e32 v19, 0x3e9e377a, v4
	;; [unrolled: 1-line block ×3, first 2 shown]
	v_add_f32_e32 v1, v1, v10
	v_mul_f32_e32 v28, 0xbf737871, v2
	v_mul_f32_e32 v18, 0xbf167918, v8
	;; [unrolled: 1-line block ×8, first 2 shown]
	v_add_f32_e32 v21, v1, v21
	v_fmac_f32_e32 v28, 0xbe9e377a, v36
	v_fmac_f32_e32 v18, 0x3f4f1bbd, v16
	;; [unrolled: 1-line block ×8, first 2 shown]
	v_add_f32_e32 v1, v11, v15
	v_add_f32_e32 v7, v0, v28
	;; [unrolled: 1-line block ×3, first 2 shown]
	v_sub_f32_e32 v17, v0, v28
	v_add_nc_u32_e32 v0, 0x800, v95
	v_add_f32_e32 v3, v12, v18
	v_add_f32_e32 v5, v22, v26
	v_add_f32_e32 v4, v14, v30
	v_add_f32_e32 v6, v24, v31
	v_add_f32_e32 v9, v20, v29
	v_add_f32_e32 v8, v23, v32
	v_add_f32_e32 v10, v25, v33
	v_sub_f32_e32 v13, v12, v18
	v_sub_f32_e32 v12, v27, v21
	v_add_nc_u32_e32 v21, 0x400, v95
	v_sub_f32_e32 v11, v11, v15
	v_sub_f32_e32 v14, v14, v30
	;; [unrolled: 1-line block ×5, first 2 shown]
	v_add_nc_u32_e32 v22, 0xc00, v95
	v_sub_f32_e32 v19, v20, v29
	v_sub_f32_e32 v20, v25, v33
	ds_write_b64 v95, v[1:2]
	ds_write2_b64 v95, v[3:4], v[5:6] offset0:68 offset1:136
	ds_write2_b64 v21, v[7:8], v[9:10] offset0:76 offset1:144
	;; [unrolled: 1-line block ×4, first 2 shown]
	ds_write_b64 v95, v[19:20] offset:4896
	s_waitcnt lgkmcnt(0)
	s_barrier
	buffer_gl0_inv
	s_and_b32 exec_lo, exec_lo, vcc_lo
	s_cbranch_execz .LBB0_23
; %bb.22:
	global_load_dwordx2 v[1:2], v91, s[12:13]
	ds_read_b64 v[3:4], v95
	s_mov_b32 s0, 0x18181818
	s_mov_b32 s1, 0x3f581818
	v_mad_u64_u32 v[7:8], null, s4, v92, 0
	s_mul_i32 s2, s5, 0x140
	s_mul_i32 s3, s4, 0x140
	s_waitcnt vmcnt(0) lgkmcnt(0)
	v_mul_f32_e32 v5, v4, v2
	v_mul_f32_e32 v2, v3, v2
	v_fmac_f32_e32 v5, v3, v1
	v_fma_f32 v3, v1, v4, -v2
	v_cvt_f64_f32_e32 v[1:2], v5
	v_cvt_f64_f32_e32 v[3:4], v3
	v_mad_u64_u32 v[5:6], null, s6, v56, 0
	s_mul_hi_u32 s6, s4, 0x140
	s_add_i32 s2, s6, s2
	v_add_co_u32 v14, s6, s12, v91
	v_add_co_ci_u32_e64 v15, null, s13, 0, s6
	v_mad_u64_u32 v[9:10], null, s7, v56, v[6:7]
	v_mad_u64_u32 v[10:11], null, s5, v92, v[8:9]
	v_mov_b32_e32 v6, v9
	v_mul_f64 v[1:2], v[1:2], s[0:1]
	v_mul_f64 v[3:4], v[3:4], s[0:1]
	v_mov_b32_e32 v8, v10
	v_cvt_f32_f64_e32 v1, v[1:2]
	v_cvt_f32_f64_e32 v2, v[3:4]
	v_lshlrev_b64 v[3:4], 3, v[5:6]
	v_lshlrev_b64 v[5:6], 3, v[7:8]
	v_add_co_u32 v12, vcc_lo, s14, v3
	v_add_co_ci_u32_e32 v13, vcc_lo, s15, v4, vcc_lo
	v_add_co_u32 v5, vcc_lo, v12, v5
	v_add_co_ci_u32_e32 v6, vcc_lo, v13, v6, vcc_lo
	global_store_dwordx2 v[5:6], v[1:2], off
	global_load_dwordx2 v[7:8], v91, s[12:13] offset:320
	ds_read2_b64 v[1:4], v95 offset0:40 offset1:80
	v_add_co_u32 v5, vcc_lo, v5, s3
	v_add_co_ci_u32_e32 v6, vcc_lo, s2, v6, vcc_lo
	s_waitcnt vmcnt(0) lgkmcnt(0)
	v_mul_f32_e32 v9, v2, v8
	v_mul_f32_e32 v8, v1, v8
	v_fmac_f32_e32 v9, v1, v7
	v_fma_f32 v7, v7, v2, -v8
	v_cvt_f64_f32_e32 v[1:2], v9
	v_cvt_f64_f32_e32 v[7:8], v7
	v_mul_f64 v[1:2], v[1:2], s[0:1]
	v_mul_f64 v[7:8], v[7:8], s[0:1]
	v_cvt_f32_f64_e32 v1, v[1:2]
	v_cvt_f32_f64_e32 v2, v[7:8]
	global_store_dwordx2 v[5:6], v[1:2], off
	global_load_dwordx2 v[1:2], v91, s[12:13] offset:640
	v_add_co_u32 v5, vcc_lo, v5, s3
	v_add_co_ci_u32_e32 v6, vcc_lo, s2, v6, vcc_lo
	s_waitcnt vmcnt(0)
	v_mul_f32_e32 v7, v4, v2
	v_mul_f32_e32 v2, v3, v2
	v_fmac_f32_e32 v7, v3, v1
	v_fma_f32 v3, v1, v4, -v2
	v_cvt_f64_f32_e32 v[1:2], v7
	v_cvt_f64_f32_e32 v[3:4], v3
	v_mul_f64 v[1:2], v[1:2], s[0:1]
	v_mul_f64 v[3:4], v[3:4], s[0:1]
	v_cvt_f32_f64_e32 v1, v[1:2]
	v_cvt_f32_f64_e32 v2, v[3:4]
	global_store_dwordx2 v[5:6], v[1:2], off
	global_load_dwordx2 v[7:8], v91, s[12:13] offset:960
	ds_read2_b64 v[1:4], v95 offset0:120 offset1:160
	v_add_co_u32 v5, vcc_lo, v5, s3
	v_add_co_ci_u32_e32 v6, vcc_lo, s2, v6, vcc_lo
	s_waitcnt vmcnt(0) lgkmcnt(0)
	v_mul_f32_e32 v9, v2, v8
	v_mul_f32_e32 v8, v1, v8
	v_fmac_f32_e32 v9, v1, v7
	v_fma_f32 v7, v7, v2, -v8
	v_cvt_f64_f32_e32 v[1:2], v9
	v_cvt_f64_f32_e32 v[7:8], v7
	v_mul_f64 v[1:2], v[1:2], s[0:1]
	v_mul_f64 v[7:8], v[7:8], s[0:1]
	v_cvt_f32_f64_e32 v1, v[1:2]
	v_cvt_f32_f64_e32 v2, v[7:8]
	global_store_dwordx2 v[5:6], v[1:2], off
	global_load_dwordx2 v[1:2], v91, s[12:13] offset:1280
	v_add_co_u32 v5, vcc_lo, v5, s3
	v_add_co_ci_u32_e32 v6, vcc_lo, s2, v6, vcc_lo
	s_waitcnt vmcnt(0)
	v_mul_f32_e32 v7, v4, v2
	v_mul_f32_e32 v2, v3, v2
	v_fmac_f32_e32 v7, v3, v1
	v_fma_f32 v3, v1, v4, -v2
	v_cvt_f64_f32_e32 v[1:2], v7
	v_cvt_f64_f32_e32 v[3:4], v3
	v_mul_f64 v[1:2], v[1:2], s[0:1]
	v_mul_f64 v[3:4], v[3:4], s[0:1]
	v_cvt_f32_f64_e32 v1, v[1:2]
	v_cvt_f32_f64_e32 v2, v[3:4]
	global_store_dwordx2 v[5:6], v[1:2], off
	global_load_dwordx2 v[7:8], v91, s[12:13] offset:1600
	ds_read2_b64 v[1:4], v95 offset0:200 offset1:240
	v_add_co_u32 v5, vcc_lo, v5, s3
	v_add_co_ci_u32_e32 v6, vcc_lo, s2, v6, vcc_lo
	s_waitcnt vmcnt(0) lgkmcnt(0)
	v_mul_f32_e32 v9, v2, v8
	v_mul_f32_e32 v8, v1, v8
	v_fmac_f32_e32 v9, v1, v7
	v_fma_f32 v7, v7, v2, -v8
	v_cvt_f64_f32_e32 v[1:2], v9
	v_cvt_f64_f32_e32 v[7:8], v7
	v_mul_f64 v[1:2], v[1:2], s[0:1]
	v_mul_f64 v[7:8], v[7:8], s[0:1]
	v_cvt_f32_f64_e32 v1, v[1:2]
	v_cvt_f32_f64_e32 v2, v[7:8]
	global_store_dwordx2 v[5:6], v[1:2], off
	global_load_dwordx2 v[1:2], v91, s[12:13] offset:1920
	v_add_co_u32 v5, vcc_lo, v5, s3
	v_add_co_ci_u32_e32 v6, vcc_lo, s2, v6, vcc_lo
	s_waitcnt vmcnt(0)
	v_mul_f32_e32 v7, v4, v2
	v_mul_f32_e32 v2, v3, v2
	v_fmac_f32_e32 v7, v3, v1
	v_fma_f32 v3, v1, v4, -v2
	v_cvt_f64_f32_e32 v[1:2], v7
	v_cvt_f64_f32_e32 v[3:4], v3
	v_add_co_u32 v7, vcc_lo, 0x800, v14
	v_add_co_ci_u32_e32 v8, vcc_lo, 0, v15, vcc_lo
	v_mul_f64 v[1:2], v[1:2], s[0:1]
	v_mul_f64 v[3:4], v[3:4], s[0:1]
	v_cvt_f32_f64_e32 v1, v[1:2]
	v_cvt_f32_f64_e32 v2, v[3:4]
	global_store_dwordx2 v[5:6], v[1:2], off
	global_load_dwordx2 v[9:10], v[7:8], off offset:192
	ds_read2_b64 v[1:4], v0 offset0:24 offset1:64
	v_add_co_u32 v5, vcc_lo, v5, s3
	v_add_co_ci_u32_e32 v6, vcc_lo, s2, v6, vcc_lo
	s_waitcnt vmcnt(0) lgkmcnt(0)
	v_mul_f32_e32 v11, v2, v10
	v_mul_f32_e32 v10, v1, v10
	v_fmac_f32_e32 v11, v1, v9
	v_fma_f32 v9, v9, v2, -v10
	v_cvt_f64_f32_e32 v[1:2], v11
	v_cvt_f64_f32_e32 v[9:10], v9
	v_mul_f64 v[1:2], v[1:2], s[0:1]
	v_mul_f64 v[9:10], v[9:10], s[0:1]
	v_cvt_f32_f64_e32 v1, v[1:2]
	v_cvt_f32_f64_e32 v2, v[9:10]
	v_lshlrev_b32_e32 v9, 3, v90
	global_store_dwordx2 v[5:6], v[1:2], off
	global_load_dwordx2 v[1:2], v9, s[12:13]
	v_mad_u64_u32 v[5:6], null, 0x280, s4, v[5:6]
	s_waitcnt vmcnt(0)
	v_mul_f32_e32 v9, v4, v2
	v_mul_f32_e32 v2, v3, v2
	v_fmac_f32_e32 v9, v3, v1
	v_fma_f32 v3, v1, v4, -v2
	v_cvt_f64_f32_e32 v[1:2], v9
	v_cvt_f64_f32_e32 v[3:4], v3
	v_mad_u64_u32 v[9:10], null, s4, v90, 0
	v_mad_u64_u32 v[10:11], null, s5, v90, v[10:11]
	v_mul_f64 v[1:2], v[1:2], s[0:1]
	v_mul_f64 v[3:4], v[3:4], s[0:1]
	v_cvt_f32_f64_e32 v1, v[1:2]
	v_cvt_f32_f64_e32 v2, v[3:4]
	v_lshlrev_b64 v[3:4], 3, v[9:10]
	v_add_co_u32 v3, vcc_lo, v12, v3
	v_add_co_ci_u32_e32 v4, vcc_lo, v13, v4, vcc_lo
	global_store_dwordx2 v[3:4], v[1:2], off
	global_load_dwordx2 v[9:10], v[7:8], off offset:832
	ds_read2_b64 v[1:4], v0 offset0:104 offset1:144
	s_waitcnt vmcnt(0) lgkmcnt(0)
	v_mul_f32_e32 v11, v2, v10
	v_mul_f32_e32 v10, v1, v10
	v_fmac_f32_e32 v11, v1, v9
	v_fma_f32 v9, v9, v2, -v10
	v_cvt_f64_f32_e32 v[1:2], v11
	v_cvt_f64_f32_e32 v[9:10], v9
	v_mul_f64 v[1:2], v[1:2], s[0:1]
	v_mul_f64 v[9:10], v[9:10], s[0:1]
	v_cvt_f32_f64_e32 v1, v[1:2]
	v_cvt_f32_f64_e32 v2, v[9:10]
	v_mad_u64_u32 v[9:10], null, 0x280, s5, v[6:7]
	v_mov_b32_e32 v6, v9
	global_store_dwordx2 v[5:6], v[1:2], off
	global_load_dwordx2 v[1:2], v[7:8], off offset:1152
	s_waitcnt vmcnt(0)
	v_mul_f32_e32 v9, v4, v2
	v_mul_f32_e32 v2, v3, v2
	v_fmac_f32_e32 v9, v3, v1
	v_fma_f32 v3, v1, v4, -v2
	v_cvt_f64_f32_e32 v[1:2], v9
	v_cvt_f64_f32_e32 v[3:4], v3
	v_mul_f64 v[1:2], v[1:2], s[0:1]
	v_mul_f64 v[3:4], v[3:4], s[0:1]
	v_cvt_f32_f64_e32 v1, v[1:2]
	v_cvt_f32_f64_e32 v2, v[3:4]
	v_add_co_u32 v4, vcc_lo, v5, s3
	v_add_co_ci_u32_e32 v5, vcc_lo, s2, v6, vcc_lo
	global_store_dwordx2 v[4:5], v[1:2], off
	global_load_dwordx2 v[9:10], v[7:8], off offset:1472
	ds_read2_b64 v[0:3], v0 offset0:184 offset1:224
	v_add_co_u32 v4, vcc_lo, v4, s3
	v_add_co_ci_u32_e32 v5, vcc_lo, s2, v5, vcc_lo
	s_waitcnt vmcnt(0) lgkmcnt(0)
	v_mul_f32_e32 v6, v1, v10
	v_mul_f32_e32 v10, v0, v10
	v_fmac_f32_e32 v6, v0, v9
	v_fma_f32 v9, v9, v1, -v10
	v_cvt_f64_f32_e32 v[0:1], v6
	v_cvt_f64_f32_e32 v[9:10], v9
	v_mul_f64 v[0:1], v[0:1], s[0:1]
	v_mul_f64 v[9:10], v[9:10], s[0:1]
	v_cvt_f32_f64_e32 v0, v[0:1]
	v_cvt_f32_f64_e32 v1, v[9:10]
	v_add_nc_u32_e32 v10, 0x1000, v95
	global_store_dwordx2 v[4:5], v[0:1], off
	global_load_dwordx2 v[0:1], v[7:8], off offset:1792
	v_add_co_u32 v4, vcc_lo, v4, s3
	v_add_co_ci_u32_e32 v5, vcc_lo, s2, v5, vcc_lo
	s_waitcnt vmcnt(0)
	v_mul_f32_e32 v6, v3, v1
	v_mul_f32_e32 v1, v2, v1
	v_fmac_f32_e32 v6, v2, v0
	v_fma_f32 v2, v0, v3, -v1
	v_cvt_f64_f32_e32 v[0:1], v6
	v_cvt_f64_f32_e32 v[2:3], v2
	v_add_co_u32 v6, vcc_lo, 0x1000, v14
	v_add_co_ci_u32_e32 v7, vcc_lo, 0, v15, vcc_lo
	v_mul_f64 v[0:1], v[0:1], s[0:1]
	v_mul_f64 v[2:3], v[2:3], s[0:1]
	v_cvt_f32_f64_e32 v0, v[0:1]
	v_cvt_f32_f64_e32 v1, v[2:3]
	global_store_dwordx2 v[4:5], v[0:1], off
	global_load_dwordx2 v[8:9], v[6:7], off offset:64
	ds_read2_b64 v[0:3], v10 offset0:8 offset1:48
	v_add_co_u32 v4, vcc_lo, v4, s3
	v_add_co_ci_u32_e32 v5, vcc_lo, s2, v5, vcc_lo
	s_waitcnt vmcnt(0) lgkmcnt(0)
	v_mul_f32_e32 v11, v1, v9
	v_mul_f32_e32 v9, v0, v9
	v_fmac_f32_e32 v11, v0, v8
	v_fma_f32 v8, v8, v1, -v9
	v_cvt_f64_f32_e32 v[0:1], v11
	v_cvt_f64_f32_e32 v[8:9], v8
	v_mul_f64 v[0:1], v[0:1], s[0:1]
	v_mul_f64 v[8:9], v[8:9], s[0:1]
	v_cvt_f32_f64_e32 v0, v[0:1]
	v_cvt_f32_f64_e32 v1, v[8:9]
	global_store_dwordx2 v[4:5], v[0:1], off
	global_load_dwordx2 v[0:1], v[6:7], off offset:384
	v_add_co_u32 v4, vcc_lo, v4, s3
	v_add_co_ci_u32_e32 v5, vcc_lo, s2, v5, vcc_lo
	s_waitcnt vmcnt(0)
	v_mul_f32_e32 v8, v3, v1
	v_mul_f32_e32 v1, v2, v1
	v_fmac_f32_e32 v8, v2, v0
	v_fma_f32 v2, v0, v3, -v1
	v_cvt_f64_f32_e32 v[0:1], v8
	v_cvt_f64_f32_e32 v[2:3], v2
	v_mul_f64 v[0:1], v[0:1], s[0:1]
	v_mul_f64 v[2:3], v[2:3], s[0:1]
	v_cvt_f32_f64_e32 v0, v[0:1]
	v_cvt_f32_f64_e32 v1, v[2:3]
	global_store_dwordx2 v[4:5], v[0:1], off
	global_load_dwordx2 v[6:7], v[6:7], off offset:704
	ds_read2_b64 v[0:3], v10 offset0:88 offset1:128
	v_add_co_u32 v4, vcc_lo, v4, s3
	v_add_co_ci_u32_e32 v5, vcc_lo, s2, v5, vcc_lo
	s_waitcnt vmcnt(0) lgkmcnt(0)
	v_mul_f32_e32 v8, v1, v7
	v_mul_f32_e32 v7, v0, v7
	v_fmac_f32_e32 v8, v0, v6
	v_fma_f32 v6, v6, v1, -v7
	v_cvt_f64_f32_e32 v[0:1], v8
	v_cvt_f64_f32_e32 v[6:7], v6
	v_mul_f64 v[0:1], v[0:1], s[0:1]
	v_mul_f64 v[6:7], v[6:7], s[0:1]
	v_cvt_f32_f64_e32 v0, v[0:1]
	v_cvt_f32_f64_e32 v1, v[6:7]
	v_lshlrev_b32_e32 v6, 3, v89
	global_store_dwordx2 v[4:5], v[0:1], off
	global_load_dwordx2 v[0:1], v6, s[12:13]
	s_waitcnt vmcnt(0)
	v_mul_f32_e32 v4, v3, v1
	v_mul_f32_e32 v1, v2, v1
	v_fmac_f32_e32 v4, v2, v0
	v_fma_f32 v2, v0, v3, -v1
	v_cvt_f64_f32_e32 v[0:1], v4
	v_cvt_f64_f32_e32 v[2:3], v2
	v_mad_u64_u32 v[4:5], null, s4, v89, 0
	v_mad_u64_u32 v[5:6], null, s5, v89, v[5:6]
	v_mul_f64 v[0:1], v[0:1], s[0:1]
	v_mul_f64 v[2:3], v[2:3], s[0:1]
	v_cvt_f32_f64_e32 v0, v[0:1]
	v_cvt_f32_f64_e32 v1, v[2:3]
	v_lshlrev_b64 v[2:3], 3, v[4:5]
	v_add_co_u32 v2, vcc_lo, v12, v2
	v_add_co_ci_u32_e32 v3, vcc_lo, v13, v3, vcc_lo
	global_store_dwordx2 v[2:3], v[0:1], off
.LBB0_23:
	s_endpgm
	.section	.rodata,"a",@progbits
	.p2align	6, 0x0
	.amdhsa_kernel bluestein_single_fwd_len680_dim1_sp_op_CI_CI
		.amdhsa_group_segment_fixed_size 16320
		.amdhsa_private_segment_fixed_size 0
		.amdhsa_kernarg_size 104
		.amdhsa_user_sgpr_count 6
		.amdhsa_user_sgpr_private_segment_buffer 1
		.amdhsa_user_sgpr_dispatch_ptr 0
		.amdhsa_user_sgpr_queue_ptr 0
		.amdhsa_user_sgpr_kernarg_segment_ptr 1
		.amdhsa_user_sgpr_dispatch_id 0
		.amdhsa_user_sgpr_flat_scratch_init 0
		.amdhsa_user_sgpr_private_segment_size 0
		.amdhsa_wavefront_size32 1
		.amdhsa_uses_dynamic_stack 0
		.amdhsa_system_sgpr_private_segment_wavefront_offset 0
		.amdhsa_system_sgpr_workgroup_id_x 1
		.amdhsa_system_sgpr_workgroup_id_y 0
		.amdhsa_system_sgpr_workgroup_id_z 0
		.amdhsa_system_sgpr_workgroup_info 0
		.amdhsa_system_vgpr_workitem_id 0
		.amdhsa_next_free_vgpr 204
		.amdhsa_next_free_sgpr 16
		.amdhsa_reserve_vcc 1
		.amdhsa_reserve_flat_scratch 0
		.amdhsa_float_round_mode_32 0
		.amdhsa_float_round_mode_16_64 0
		.amdhsa_float_denorm_mode_32 3
		.amdhsa_float_denorm_mode_16_64 3
		.amdhsa_dx10_clamp 1
		.amdhsa_ieee_mode 1
		.amdhsa_fp16_overflow 0
		.amdhsa_workgroup_processor_mode 1
		.amdhsa_memory_ordered 1
		.amdhsa_forward_progress 0
		.amdhsa_shared_vgpr_count 0
		.amdhsa_exception_fp_ieee_invalid_op 0
		.amdhsa_exception_fp_denorm_src 0
		.amdhsa_exception_fp_ieee_div_zero 0
		.amdhsa_exception_fp_ieee_overflow 0
		.amdhsa_exception_fp_ieee_underflow 0
		.amdhsa_exception_fp_ieee_inexact 0
		.amdhsa_exception_int_div_zero 0
	.end_amdhsa_kernel
	.text
.Lfunc_end0:
	.size	bluestein_single_fwd_len680_dim1_sp_op_CI_CI, .Lfunc_end0-bluestein_single_fwd_len680_dim1_sp_op_CI_CI
                                        ; -- End function
	.section	.AMDGPU.csdata,"",@progbits
; Kernel info:
; codeLenInByte = 18708
; NumSgprs: 18
; NumVgprs: 204
; ScratchSize: 0
; MemoryBound: 0
; FloatMode: 240
; IeeeMode: 1
; LDSByteSize: 16320 bytes/workgroup (compile time only)
; SGPRBlocks: 2
; VGPRBlocks: 25
; NumSGPRsForWavesPerEU: 18
; NumVGPRsForWavesPerEU: 204
; Occupancy: 4
; WaveLimiterHint : 1
; COMPUTE_PGM_RSRC2:SCRATCH_EN: 0
; COMPUTE_PGM_RSRC2:USER_SGPR: 6
; COMPUTE_PGM_RSRC2:TRAP_HANDLER: 0
; COMPUTE_PGM_RSRC2:TGID_X_EN: 1
; COMPUTE_PGM_RSRC2:TGID_Y_EN: 0
; COMPUTE_PGM_RSRC2:TGID_Z_EN: 0
; COMPUTE_PGM_RSRC2:TIDIG_COMP_CNT: 0
	.text
	.p2alignl 6, 3214868480
	.fill 48, 4, 3214868480
	.type	__hip_cuid_9ba791ab25d4311f,@object ; @__hip_cuid_9ba791ab25d4311f
	.section	.bss,"aw",@nobits
	.globl	__hip_cuid_9ba791ab25d4311f
__hip_cuid_9ba791ab25d4311f:
	.byte	0                               ; 0x0
	.size	__hip_cuid_9ba791ab25d4311f, 1

	.ident	"AMD clang version 19.0.0git (https://github.com/RadeonOpenCompute/llvm-project roc-6.4.0 25133 c7fe45cf4b819c5991fe208aaa96edf142730f1d)"
	.section	".note.GNU-stack","",@progbits
	.addrsig
	.addrsig_sym __hip_cuid_9ba791ab25d4311f
	.amdgpu_metadata
---
amdhsa.kernels:
  - .args:
      - .actual_access:  read_only
        .address_space:  global
        .offset:         0
        .size:           8
        .value_kind:     global_buffer
      - .actual_access:  read_only
        .address_space:  global
        .offset:         8
        .size:           8
        .value_kind:     global_buffer
      - .actual_access:  read_only
        .address_space:  global
        .offset:         16
        .size:           8
        .value_kind:     global_buffer
      - .actual_access:  read_only
        .address_space:  global
        .offset:         24
        .size:           8
        .value_kind:     global_buffer
      - .actual_access:  read_only
        .address_space:  global
        .offset:         32
        .size:           8
        .value_kind:     global_buffer
      - .offset:         40
        .size:           8
        .value_kind:     by_value
      - .address_space:  global
        .offset:         48
        .size:           8
        .value_kind:     global_buffer
      - .address_space:  global
        .offset:         56
        .size:           8
        .value_kind:     global_buffer
      - .address_space:  global
        .offset:         64
        .size:           8
        .value_kind:     global_buffer
      - .address_space:  global
        .offset:         72
        .size:           8
        .value_kind:     global_buffer
      - .offset:         80
        .size:           4
        .value_kind:     by_value
      - .address_space:  global
        .offset:         88
        .size:           8
        .value_kind:     global_buffer
      - .address_space:  global
        .offset:         96
        .size:           8
        .value_kind:     global_buffer
    .group_segment_fixed_size: 16320
    .kernarg_segment_align: 8
    .kernarg_segment_size: 104
    .language:       OpenCL C
    .language_version:
      - 2
      - 0
    .max_flat_workgroup_size: 204
    .name:           bluestein_single_fwd_len680_dim1_sp_op_CI_CI
    .private_segment_fixed_size: 0
    .sgpr_count:     18
    .sgpr_spill_count: 0
    .symbol:         bluestein_single_fwd_len680_dim1_sp_op_CI_CI.kd
    .uniform_work_group_size: 1
    .uses_dynamic_stack: false
    .vgpr_count:     204
    .vgpr_spill_count: 0
    .wavefront_size: 32
    .workgroup_processor_mode: 1
amdhsa.target:   amdgcn-amd-amdhsa--gfx1030
amdhsa.version:
  - 1
  - 2
...

	.end_amdgpu_metadata
